;; amdgpu-corpus repo=ROCm/rocFFT kind=compiled arch=gfx950 opt=O3
	.text
	.amdgcn_target "amdgcn-amd-amdhsa--gfx950"
	.amdhsa_code_object_version 6
	.protected	bluestein_single_fwd_len676_dim1_dp_op_CI_CI ; -- Begin function bluestein_single_fwd_len676_dim1_dp_op_CI_CI
	.globl	bluestein_single_fwd_len676_dim1_dp_op_CI_CI
	.p2align	8
	.type	bluestein_single_fwd_len676_dim1_dp_op_CI_CI,@function
bluestein_single_fwd_len676_dim1_dp_op_CI_CI: ; @bluestein_single_fwd_len676_dim1_dp_op_CI_CI
; %bb.0:
	s_load_dwordx4 s[12:15], s[0:1], 0x28
	v_mul_u32_u24_e32 v1, 0x4ed, v0
	v_add_u32_sdwa v214, s2, v1 dst_sel:DWORD dst_unused:UNUSED_PAD src0_sel:DWORD src1_sel:WORD_1
	v_mov_b32_e32 v215, 0
	s_waitcnt lgkmcnt(0)
	v_cmp_gt_u64_e32 vcc, s[12:13], v[214:215]
	s_and_saveexec_b64 s[2:3], vcc
	s_cbranch_execz .LBB0_10
; %bb.1:
	s_load_dwordx4 s[4:7], s[0:1], 0x18
	s_load_dwordx4 s[8:11], s[0:1], 0x0
	v_mov_b32_e32 v2, s14
	v_mov_b32_e32 v3, s15
	;; [unrolled: 1-line block ×3, first 2 shown]
	s_waitcnt lgkmcnt(0)
	s_load_dwordx4 s[12:15], s[4:5], 0x0
	v_mul_lo_u16_sdwa v1, v1, v4 dst_sel:DWORD dst_unused:UNUSED_PAD src0_sel:WORD_1 src1_sel:DWORD
	v_sub_u16_e32 v216, v0, v1
	v_mov_b32_e32 v8, 0x340
	v_lshlrev_b32_e32 v212, 4, v216
	s_waitcnt lgkmcnt(0)
	v_mad_u64_u32 v[0:1], s[2:3], s14, v214, 0
	v_mov_b32_e32 v4, v1
	v_mad_u64_u32 v[4:5], s[2:3], s15, v214, v[4:5]
	v_mov_b32_e32 v1, v4
	v_mad_u64_u32 v[4:5], s[2:3], s12, v216, 0
	v_mov_b32_e32 v6, v5
	v_mad_u64_u32 v[6:7], s[2:3], s13, v216, v[6:7]
	v_mov_b32_e32 v5, v6
	v_lshl_add_u64 v[0:1], v[0:1], 4, v[2:3]
	v_lshl_add_u64 v[0:1], v[4:5], 4, v[0:1]
	global_load_dwordx4 v[52:55], v[0:1], off
	v_mad_u64_u32 v[0:1], s[2:3], s12, v8, v[0:1]
	s_mul_i32 s2, s13, 0x340
	s_nop 0
	v_add_u32_e32 v1, s2, v1
	global_load_dwordx4 v[40:43], v212, s[8:9]
	global_load_dwordx4 v[16:19], v212, s[8:9] offset:832
	v_mad_u64_u32 v[2:3], s[4:5], s12, v8, v[0:1]
	v_add_u32_e32 v3, s2, v3
	global_load_dwordx4 v[60:63], v[0:1], off
	global_load_dwordx4 v[56:59], v[2:3], off
	v_mad_u64_u32 v[4:5], s[4:5], s12, v8, v[2:3]
	v_add_u32_e32 v5, s2, v5
	global_load_dwordx4 v[36:39], v212, s[8:9] offset:1664
	global_load_dwordx4 v[24:27], v212, s[8:9] offset:2496
	v_mad_u64_u32 v[6:7], s[4:5], s12, v8, v[4:5]
	v_add_u32_e32 v7, s2, v7
	global_load_dwordx4 v[68:71], v[4:5], off
	global_load_dwordx4 v[64:67], v[6:7], off
	global_load_dwordx4 v[0:3], v212, s[8:9] offset:3328
	v_mad_u64_u32 v[4:5], s[4:5], s12, v8, v[6:7]
	v_mov_b32_e32 v213, v215
	v_add_u32_e32 v5, s2, v5
	v_lshl_add_u64 v[12:13], s[8:9], 0, v[212:213]
	global_load_dwordx4 v[72:75], v[4:5], off
	s_movk_i32 s3, 0x1000
	v_mad_u64_u32 v[4:5], s[4:5], s12, v8, v[4:5]
	v_add_co_u32_e32 v14, vcc, s3, v12
	v_add_u32_e32 v5, s2, v5
	s_nop 0
	v_addc_co_u32_e32 v15, vcc, 0, v13, vcc
	global_load_dwordx4 v[76:79], v[4:5], off
	global_load_dwordx4 v[48:51], v[14:15], off offset:64
	global_load_dwordx4 v[108:111], v[14:15], off offset:896
	v_mad_u64_u32 v[4:5], s[4:5], s12, v8, v[4:5]
	v_add_u32_e32 v5, s2, v5
	v_mad_u64_u32 v[20:21], s[4:5], s12, v8, v[4:5]
	global_load_dwordx4 v[80:83], v[4:5], off
	v_add_u32_e32 v21, s2, v21
	global_load_dwordx4 v[84:87], v[20:21], off
	global_load_dwordx4 v[44:47], v[14:15], off offset:1728
	global_load_dwordx4 v[4:7], v[14:15], off offset:2560
	v_mad_u64_u32 v[28:29], s[4:5], s12, v8, v[20:21]
	v_add_u32_e32 v29, s2, v29
	s_movk_i32 s3, 0x2000
	global_load_dwordx4 v[88:91], v[28:29], off
	global_load_dwordx4 v[20:23], v[14:15], off offset:3392
	v_mad_u64_u32 v[28:29], s[4:5], s12, v8, v[28:29]
	v_add_co_u32_e32 v104, vcc, s3, v12
	v_add_u32_e32 v29, s2, v29
	s_nop 0
	v_addc_co_u32_e32 v105, vcc, 0, v13, vcc
	global_load_dwordx4 v[92:95], v[28:29], off
	global_load_dwordx4 v[12:15], v[104:105], off offset:128
	v_mad_u64_u32 v[32:33], s[4:5], s12, v8, v[28:29]
	v_add_u32_e32 v33, s2, v33
	global_load_dwordx4 v[96:99], v[32:33], off
	global_load_dwordx4 v[28:31], v[104:105], off offset:960
	v_mad_u64_u32 v[106:107], s[4:5], s12, v8, v[32:33]
	v_add_u32_e32 v107, s2, v107
	global_load_dwordx4 v[100:103], v[106:107], off
	global_load_dwordx4 v[32:35], v[104:105], off offset:1792
	s_load_dwordx4 s[4:7], s[6:7], 0x0
	s_mov_b32 s36, 0x4267c47c
	s_mov_b32 s12, 0x42a4c3d2
	;; [unrolled: 1-line block ×20, first 2 shown]
	s_waitcnt vmcnt(24)
	v_mul_f64 v[104:105], v[54:55], v[42:43]
	v_fmac_f64_e32 v[104:105], v[52:53], v[40:41]
	v_mul_f64 v[52:53], v[52:53], v[42:43]
	v_fma_f64 v[106:107], v[54:55], v[40:41], -v[52:53]
	s_waitcnt vmcnt(22)
	v_mul_f64 v[52:53], v[62:63], v[18:19]
	v_mul_f64 v[54:55], v[60:61], v[18:19]
	v_fmac_f64_e32 v[52:53], v[60:61], v[16:17]
	v_fma_f64 v[54:55], v[62:63], v[16:17], -v[54:55]
	ds_write_b128 v212, v[52:55] offset:832
	s_waitcnt vmcnt(20)
	v_mul_f64 v[52:53], v[58:59], v[38:39]
	v_mul_f64 v[54:55], v[56:57], v[38:39]
	v_fmac_f64_e32 v[52:53], v[56:57], v[36:37]
	v_fma_f64 v[54:55], v[58:59], v[36:37], -v[54:55]
	ds_write_b128 v212, v[52:55] offset:1664
	;; [unrolled: 6-line block ×4, first 2 shown]
	ds_write_b128 v212, v[104:107]
	s_mov_b32 s15, 0x3fbedb7d
	s_mov_b32 s19, 0xbfd6b1d8
	s_waitcnt vmcnt(13)
	v_mul_f64 v[52:53], v[74:75], v[50:51]
	v_mul_f64 v[54:55], v[72:73], v[50:51]
	v_fmac_f64_e32 v[52:53], v[72:73], v[48:49]
	v_fma_f64 v[54:55], v[74:75], v[48:49], -v[54:55]
	ds_write_b128 v212, v[52:55] offset:4160
	s_waitcnt vmcnt(12)
	v_mul_f64 v[52:53], v[78:79], v[110:111]
	v_mul_f64 v[54:55], v[76:77], v[110:111]
	v_fmac_f64_e32 v[52:53], v[76:77], v[108:109]
	v_fma_f64 v[54:55], v[78:79], v[108:109], -v[54:55]
	ds_write_b128 v212, v[52:55] offset:4992
	;; [unrolled: 6-line block ×7, first 2 shown]
	s_waitcnt vmcnt(0)
	v_mul_f64 v[52:53], v[102:103], v[34:35]
	v_mul_f64 v[54:55], v[100:101], v[34:35]
	v_accvgpr_write_b32 a8, v108
	v_fmac_f64_e32 v[52:53], v[100:101], v[32:33]
	v_fma_f64 v[54:55], v[102:103], v[32:33], -v[54:55]
	v_accvgpr_write_b32 a9, v109
	v_accvgpr_write_b32 a10, v110
	;; [unrolled: 1-line block ×3, first 2 shown]
	ds_write_b128 v212, v[52:55] offset:9984
	s_waitcnt lgkmcnt(0)
	; wave barrier
	s_waitcnt lgkmcnt(0)
	ds_read_b128 v[56:59], v212
	ds_read_b128 v[96:99], v212 offset:832
	ds_read_b128 v[92:95], v212 offset:1664
	;; [unrolled: 1-line block ×12, first 2 shown]
	s_waitcnt lgkmcnt(11)
	v_add_f64 v[52:53], v[56:57], v[96:97]
	v_add_f64 v[54:55], v[58:59], v[98:99]
	s_waitcnt lgkmcnt(10)
	v_add_f64 v[52:53], v[52:53], v[92:93]
	v_add_f64 v[54:55], v[54:55], v[94:95]
	;; [unrolled: 3-line block ×11, first 2 shown]
	s_waitcnt lgkmcnt(0)
	v_add_f64 v[114:115], v[98:99], -v[108:109]
	v_add_f64 v[52:53], v[52:53], v[106:107]
	v_add_f64 v[54:55], v[54:55], v[108:109]
	;; [unrolled: 1-line block ×4, first 2 shown]
	v_add_f64 v[106:107], v[96:97], -v[106:107]
	v_mul_f64 v[108:109], v[114:115], s[36:37]
	v_add_f64 v[96:97], v[94:95], v[102:103]
	v_add_f64 v[94:95], v[94:95], -v[102:103]
	v_add_f64 v[102:103], v[84:85], v[88:89]
	v_add_f64 v[84:85], v[84:85], -v[88:89]
	;; [unrolled: 2-line block ×5, first 2 shown]
	v_mul_f64 v[60:61], v[114:115], s[12:13]
	v_mul_f64 v[64:65], v[114:115], s[28:29]
	;; [unrolled: 1-line block ×3, first 2 shown]
	s_mov_b32 s21, 0xbfe7f3cc
	v_mul_f64 v[126:127], v[114:115], s[24:25]
	v_mul_f64 v[128:129], v[114:115], s[38:39]
	s_mov_b32 s27, 0xbfef11f4
	v_fma_f64 v[110:111], v[112:113], s[2:3], -v[108:109]
	v_fmac_f64_e32 v[108:109], s[2:3], v[112:113]
	v_add_f64 v[98:99], v[92:93], v[100:101]
	v_add_f64 v[92:93], v[92:93], -v[100:101]
	v_add_f64 v[100:101], v[86:87], v[90:91]
	v_add_f64 v[86:87], v[86:87], -v[90:91]
	;; [unrolled: 2-line block ×5, first 2 shown]
	v_fma_f64 v[62:63], v[112:113], s[16:17], -v[60:61]
	v_fmac_f64_e32 v[60:61], s[16:17], v[112:113]
	v_fma_f64 v[66:67], v[112:113], s[14:15], -v[64:65]
	v_fmac_f64_e32 v[64:65], s[14:15], v[112:113]
	;; [unrolled: 2-line block ×5, first 2 shown]
	v_mul_f64 v[112:113], v[106:107], s[36:37]
	v_fma_f64 v[114:115], s[2:3], v[104:105], v[112:113]
	v_mul_f64 v[132:133], v[106:107], s[12:13]
	v_mul_f64 v[136:137], v[106:107], s[28:29]
	;; [unrolled: 1-line block ×5, first 2 shown]
	v_fma_f64 v[112:113], v[104:105], s[2:3], -v[112:113]
	v_fma_f64 v[134:135], s[16:17], v[104:105], v[132:133]
	v_fma_f64 v[132:133], v[104:105], s[16:17], -v[132:133]
	v_fma_f64 v[138:139], s[14:15], v[104:105], v[136:137]
	;; [unrolled: 2-line block ×5, first 2 shown]
	v_fma_f64 v[104:105], v[104:105], s[26:27], -v[106:107]
	v_add_f64 v[150:151], v[56:57], v[110:111]
	v_add_f64 v[152:153], v[58:59], v[114:115]
	v_add_f64 v[154:155], v[56:57], v[108:109]
	v_add_f64 v[158:159], v[56:57], v[62:63]
	v_add_f64 v[160:161], v[56:57], v[60:61]
	v_add_f64 v[162:163], v[56:57], v[66:67]
	v_add_f64 v[164:165], v[56:57], v[64:65]
	v_add_f64 v[166:167], v[56:57], v[70:71]
	v_add_f64 v[168:169], v[56:57], v[68:69]
	v_add_f64 v[170:171], v[56:57], v[124:125]
	v_add_f64 v[114:115], v[56:57], v[126:127]
	v_add_f64 v[110:111], v[56:57], v[130:131]
	v_add_f64 v[106:107], v[56:57], v[128:129]
	v_mul_f64 v[56:57], v[94:95], s[12:13]
	v_add_f64 v[156:157], v[58:59], v[112:113]
	v_add_f64 v[134:135], v[58:59], v[134:135]
	;; [unrolled: 1-line block ×11, first 2 shown]
	v_fma_f64 v[58:59], v[98:99], s[16:17], -v[56:57]
	v_mul_f64 v[64:65], v[92:93], s[12:13]
	v_mul_f64 v[66:67], v[86:87], s[28:29]
	v_add_f64 v[58:59], v[58:59], v[150:151]
	v_fma_f64 v[60:61], s[16:17], v[96:97], v[64:65]
	v_fma_f64 v[62:63], v[102:103], s[14:15], -v[66:67]
	v_mul_f64 v[68:69], v[84:85], s[28:29]
	v_add_f64 v[60:61], v[60:61], v[152:153]
	v_add_f64 v[58:59], v[62:63], v[58:59]
	v_fma_f64 v[62:63], s[14:15], v[100:101], v[68:69]
	v_mul_f64 v[70:71], v[78:79], s[22:23]
	v_add_f64 v[60:61], v[62:63], v[60:61]
	v_fma_f64 v[62:63], v[90:91], s[18:19], -v[70:71]
	v_mul_f64 v[126:127], v[76:77], s[22:23]
	v_add_f64 v[58:59], v[62:63], v[58:59]
	v_fma_f64 v[62:63], s[18:19], v[88:89], v[126:127]
	v_mul_f64 v[128:129], v[74:75], s[24:25]
	v_fmac_f64_e32 v[56:57], s[16:17], v[98:99]
	v_add_f64 v[60:61], v[62:63], v[60:61]
	v_fma_f64 v[62:63], v[82:83], s[20:21], -v[128:129]
	v_mul_f64 v[130:131], v[72:73], s[24:25]
	v_add_f64 v[56:57], v[56:57], v[154:155]
	v_fma_f64 v[64:65], v[96:97], s[16:17], -v[64:65]
	v_fmac_f64_e32 v[66:67], s[14:15], v[102:103]
	v_add_f64 v[58:59], v[62:63], v[58:59]
	v_fma_f64 v[62:63], s[20:21], v[80:81], v[130:131]
	v_mul_f64 v[144:145], v[122:123], s[38:39]
	v_add_f64 v[64:65], v[64:65], v[156:157]
	v_add_f64 v[56:57], v[66:67], v[56:57]
	v_fma_f64 v[66:67], v[100:101], s[14:15], -v[68:69]
	v_add_f64 v[62:63], v[62:63], v[60:61]
	v_fma_f64 v[60:61], v[118:119], s[26:27], -v[144:145]
	;; [unrolled: 2-line block ×3, first 2 shown]
	v_add_f64 v[60:61], v[60:61], v[58:59]
	v_mul_f64 v[58:59], v[120:121], s[38:39]
	v_add_f64 v[64:65], v[66:67], v[64:65]
	v_fma_f64 v[66:67], v[80:81], s[20:21], -v[130:131]
	v_fma_f64 v[146:147], s[26:27], v[116:117], v[58:59]
	v_fmac_f64_e32 v[70:71], s[18:19], v[90:91]
	v_add_f64 v[64:65], v[66:67], v[64:65]
	v_fma_f64 v[58:59], v[116:117], s[26:27], -v[58:59]
	v_add_f64 v[56:57], v[70:71], v[56:57]
	v_fmac_f64_e32 v[128:129], s[20:21], v[82:83]
	v_add_f64 v[58:59], v[58:59], v[64:65]
	v_mul_f64 v[64:65], v[94:95], s[22:23]
	v_add_f64 v[56:57], v[128:129], v[56:57]
	v_fma_f64 v[66:67], v[98:99], s[18:19], -v[64:65]
	v_mul_f64 v[126:127], v[92:93], s[22:23]
	v_mul_f64 v[128:129], v[86:87], s[38:39]
	v_add_f64 v[66:67], v[66:67], v[158:159]
	v_fma_f64 v[68:69], s[18:19], v[96:97], v[126:127]
	v_fma_f64 v[70:71], v[102:103], s[26:27], -v[128:129]
	v_mul_f64 v[130:131], v[84:85], s[38:39]
	s_mov_b32 s41, 0x3fe5384d
	s_mov_b32 s40, s24
	v_fmac_f64_e32 v[144:145], s[26:27], v[118:119]
	v_add_f64 v[68:69], v[68:69], v[134:135]
	v_add_f64 v[66:67], v[70:71], v[66:67]
	v_fma_f64 v[70:71], s[26:27], v[100:101], v[130:131]
	v_mul_f64 v[134:135], v[78:79], s[40:41]
	v_add_f64 v[56:57], v[144:145], v[56:57]
	v_add_f64 v[68:69], v[70:71], v[68:69]
	v_fma_f64 v[70:71], v[90:91], s[20:21], -v[134:135]
	v_mul_f64 v[144:145], v[76:77], s[40:41]
	s_mov_b32 s31, 0x3fefc445
	s_mov_b32 s30, s28
	v_add_f64 v[62:63], v[146:147], v[62:63]
	v_add_f64 v[66:67], v[70:71], v[66:67]
	v_fma_f64 v[70:71], s[20:21], v[88:89], v[144:145]
	v_mul_f64 v[146:147], v[74:75], s[30:31]
	v_fmac_f64_e32 v[64:65], s[18:19], v[98:99]
	v_add_f64 v[68:69], v[70:71], v[68:69]
	v_fma_f64 v[70:71], v[82:83], s[14:15], -v[146:147]
	v_mul_f64 v[148:149], v[72:73], s[30:31]
	s_mov_b32 s35, 0x3fddbe06
	s_mov_b32 s34, s36
	v_add_f64 v[64:65], v[64:65], v[160:161]
	v_fma_f64 v[126:127], v[96:97], s[18:19], -v[126:127]
	v_fmac_f64_e32 v[128:129], s[26:27], v[102:103]
	v_add_f64 v[66:67], v[70:71], v[66:67]
	v_fma_f64 v[70:71], s[14:15], v[80:81], v[148:149]
	v_mul_f64 v[150:151], v[122:123], s[34:35]
	v_add_f64 v[126:127], v[126:127], v[132:133]
	v_add_f64 v[64:65], v[128:129], v[64:65]
	v_fma_f64 v[128:129], v[100:101], s[26:27], -v[130:131]
	v_add_f64 v[70:71], v[70:71], v[68:69]
	v_fma_f64 v[68:69], v[118:119], s[2:3], -v[150:151]
	;; [unrolled: 2-line block ×3, first 2 shown]
	v_add_f64 v[68:69], v[68:69], v[66:67]
	v_mul_f64 v[66:67], v[120:121], s[34:35]
	v_add_f64 v[126:127], v[128:129], v[126:127]
	v_fma_f64 v[128:129], v[80:81], s[14:15], -v[148:149]
	v_fma_f64 v[152:153], s[2:3], v[116:117], v[66:67]
	v_fmac_f64_e32 v[134:135], s[20:21], v[90:91]
	v_add_f64 v[126:127], v[128:129], v[126:127]
	v_fma_f64 v[66:67], v[116:117], s[2:3], -v[66:67]
	v_mul_f64 v[130:131], v[94:95], s[38:39]
	v_mul_f64 v[132:133], v[92:93], s[38:39]
	s_mov_b32 s47, 0x3fedeba7
	s_mov_b32 s46, s22
	v_add_f64 v[64:65], v[134:135], v[64:65]
	v_add_f64 v[66:67], v[66:67], v[126:127]
	v_fma_f64 v[126:127], v[98:99], s[26:27], -v[130:131]
	v_fma_f64 v[128:129], s[26:27], v[96:97], v[132:133]
	v_mul_f64 v[134:135], v[86:87], s[46:47]
	v_add_f64 v[126:127], v[126:127], v[162:163]
	v_add_f64 v[128:129], v[128:129], v[138:139]
	v_fma_f64 v[138:139], v[102:103], s[18:19], -v[134:135]
	v_add_f64 v[126:127], v[138:139], v[126:127]
	v_mul_f64 v[138:139], v[84:85], s[46:47]
	v_fma_f64 v[144:145], s[18:19], v[100:101], v[138:139]
	v_fmac_f64_e32 v[146:147], s[14:15], v[82:83]
	v_add_f64 v[128:129], v[144:145], v[128:129]
	v_mul_f64 v[144:145], v[78:79], s[34:35]
	v_add_f64 v[64:65], v[146:147], v[64:65]
	v_fma_f64 v[146:147], v[90:91], s[2:3], -v[144:145]
	v_add_f64 v[126:127], v[146:147], v[126:127]
	v_mul_f64 v[146:147], v[76:77], s[34:35]
	v_fma_f64 v[148:149], s[2:3], v[88:89], v[146:147]
	v_fmac_f64_e32 v[150:151], s[2:3], v[118:119]
	v_add_f64 v[128:129], v[148:149], v[128:129]
	v_mul_f64 v[148:149], v[74:75], s[12:13]
	v_add_f64 v[64:65], v[150:151], v[64:65]
	v_fma_f64 v[150:151], v[82:83], s[16:17], -v[148:149]
	v_add_f64 v[126:127], v[150:151], v[126:127]
	v_mul_f64 v[150:151], v[72:73], s[12:13]
	v_fmac_f64_e32 v[130:131], s[26:27], v[98:99]
	v_add_f64 v[70:71], v[152:153], v[70:71]
	v_fma_f64 v[152:153], s[16:17], v[80:81], v[150:151]
	v_add_f64 v[130:131], v[130:131], v[164:165]
	v_fma_f64 v[132:133], v[96:97], s[26:27], -v[132:133]
	v_fmac_f64_e32 v[134:135], s[18:19], v[102:103]
	v_add_f64 v[128:129], v[152:153], v[128:129]
	v_mul_f64 v[152:153], v[122:123], s[24:25]
	v_add_f64 v[132:133], v[132:133], v[136:137]
	v_add_f64 v[130:131], v[134:135], v[130:131]
	v_fma_f64 v[134:135], v[100:101], s[18:19], -v[138:139]
	v_fma_f64 v[154:155], v[118:119], s[20:21], -v[152:153]
	v_add_f64 v[132:133], v[134:135], v[132:133]
	v_fmac_f64_e32 v[144:145], s[2:3], v[90:91]
	v_fma_f64 v[134:135], v[88:89], s[2:3], -v[146:147]
	v_add_f64 v[126:127], v[154:155], v[126:127]
	v_mul_f64 v[154:155], v[120:121], s[24:25]
	v_add_f64 v[130:131], v[144:145], v[130:131]
	v_add_f64 v[132:133], v[134:135], v[132:133]
	v_fma_f64 v[134:135], v[80:81], s[16:17], -v[150:151]
	v_mul_f64 v[144:145], v[92:93], s[40:41]
	v_add_f64 v[132:133], v[134:135], v[132:133]
	v_fma_f64 v[134:135], v[116:117], s[20:21], -v[154:155]
	v_mul_f64 v[138:139], v[94:95], s[40:41]
	v_fma_f64 v[136:137], s[20:21], v[96:97], v[144:145]
	v_add_f64 v[132:133], v[134:135], v[132:133]
	v_fma_f64 v[134:135], v[98:99], s[20:21], -v[138:139]
	v_add_f64 v[136:137], v[136:137], v[142:143]
	v_mul_f64 v[142:143], v[86:87], s[34:35]
	v_add_f64 v[134:135], v[134:135], v[166:167]
	v_fma_f64 v[146:147], v[102:103], s[2:3], -v[142:143]
	v_fmac_f64_e32 v[148:149], s[16:17], v[82:83]
	v_add_f64 v[134:135], v[146:147], v[134:135]
	v_mul_f64 v[146:147], v[84:85], s[34:35]
	v_add_f64 v[130:131], v[148:149], v[130:131]
	v_fma_f64 v[148:149], s[2:3], v[100:101], v[146:147]
	v_add_f64 v[136:137], v[148:149], v[136:137]
	v_mul_f64 v[148:149], v[78:79], s[28:29]
	v_fma_f64 v[150:151], v[90:91], s[14:15], -v[148:149]
	v_fmac_f64_e32 v[152:153], s[20:21], v[118:119]
	v_add_f64 v[134:135], v[150:151], v[134:135]
	v_mul_f64 v[150:151], v[76:77], s[28:29]
	v_add_f64 v[130:131], v[152:153], v[130:131]
	v_fma_f64 v[152:153], s[14:15], v[88:89], v[150:151]
	s_mov_b32 s45, 0x3fcea1e5
	s_mov_b32 s44, s38
	v_add_f64 v[136:137], v[152:153], v[136:137]
	v_mul_f64 v[152:153], v[74:75], s[44:45]
	v_fma_f64 v[156:157], s[20:21], v[116:117], v[154:155]
	v_fma_f64 v[154:155], v[82:83], s[26:27], -v[152:153]
	v_add_f64 v[134:135], v[154:155], v[134:135]
	v_mul_f64 v[154:155], v[72:73], s[44:45]
	v_fmac_f64_e32 v[138:139], s[20:21], v[98:99]
	v_add_f64 v[128:129], v[156:157], v[128:129]
	v_fma_f64 v[156:157], s[26:27], v[80:81], v[154:155]
	s_mov_b32 s43, 0x3fea55e2
	s_mov_b32 s42, s12
	v_add_f64 v[138:139], v[138:139], v[168:169]
	v_fma_f64 v[144:145], v[96:97], s[20:21], -v[144:145]
	v_fmac_f64_e32 v[142:143], s[2:3], v[102:103]
	v_add_f64 v[136:137], v[156:157], v[136:137]
	v_mul_f64 v[156:157], v[122:123], s[42:43]
	v_add_f64 v[140:141], v[144:145], v[140:141]
	v_add_f64 v[138:139], v[142:143], v[138:139]
	v_fma_f64 v[142:143], v[100:101], s[2:3], -v[146:147]
	v_fma_f64 v[158:159], v[118:119], s[16:17], -v[156:157]
	v_add_f64 v[140:141], v[142:143], v[140:141]
	v_fma_f64 v[142:143], v[88:89], s[14:15], -v[150:151]
	v_add_f64 v[134:135], v[158:159], v[134:135]
	v_mul_f64 v[158:159], v[120:121], s[42:43]
	v_fmac_f64_e32 v[148:149], s[14:15], v[90:91]
	v_add_f64 v[140:141], v[142:143], v[140:141]
	v_fma_f64 v[142:143], v[80:81], s[26:27], -v[154:155]
	v_add_f64 v[138:139], v[148:149], v[138:139]
	v_add_f64 v[140:141], v[142:143], v[140:141]
	v_fma_f64 v[142:143], v[116:117], s[16:17], -v[158:159]
	v_mul_f64 v[146:147], v[94:95], s[30:31]
	v_mul_f64 v[148:149], v[92:93], s[30:31]
	v_fmac_f64_e32 v[152:153], s[26:27], v[82:83]
	v_add_f64 v[140:141], v[142:143], v[140:141]
	v_fma_f64 v[142:143], v[98:99], s[14:15], -v[146:147]
	v_fma_f64 v[144:145], s[14:15], v[96:97], v[148:149]
	v_mul_f64 v[150:151], v[86:87], s[12:13]
	v_add_f64 v[138:139], v[152:153], v[138:139]
	v_add_f64 v[142:143], v[142:143], v[170:171]
	;; [unrolled: 1-line block ×3, first 2 shown]
	v_fma_f64 v[144:145], v[102:103], s[16:17], -v[150:151]
	v_mul_f64 v[152:153], v[84:85], s[12:13]
	v_fmac_f64_e32 v[156:157], s[16:17], v[118:119]
	v_add_f64 v[142:143], v[144:145], v[142:143]
	v_fma_f64 v[144:145], s[16:17], v[100:101], v[152:153]
	v_mul_f64 v[154:155], v[78:79], s[44:45]
	v_add_f64 v[138:139], v[156:157], v[138:139]
	v_add_f64 v[124:125], v[144:145], v[124:125]
	v_fma_f64 v[144:145], v[90:91], s[26:27], -v[154:155]
	v_mul_f64 v[156:157], v[76:77], s[44:45]
	v_fma_f64 v[160:161], s[16:17], v[116:117], v[158:159]
	v_add_f64 v[142:143], v[144:145], v[142:143]
	v_fma_f64 v[144:145], s[26:27], v[88:89], v[156:157]
	v_mul_f64 v[158:159], v[74:75], s[34:35]
	v_add_f64 v[136:137], v[160:161], v[136:137]
	v_add_f64 v[124:125], v[144:145], v[124:125]
	v_fma_f64 v[144:145], v[82:83], s[2:3], -v[158:159]
	v_mul_f64 v[160:161], v[72:73], s[34:35]
	v_add_f64 v[142:143], v[144:145], v[142:143]
	v_fma_f64 v[144:145], s[2:3], v[80:81], v[160:161]
	v_mul_f64 v[162:163], v[122:123], s[22:23]
	v_add_f64 v[124:125], v[144:145], v[124:125]
	v_fma_f64 v[144:145], v[118:119], s[18:19], -v[162:163]
	v_mul_f64 v[164:165], v[120:121], s[22:23]
	v_add_f64 v[142:143], v[144:145], v[142:143]
	v_fma_f64 v[144:145], s[18:19], v[116:117], v[164:165]
	v_add_f64 v[144:145], v[144:145], v[124:125]
	v_fma_f64 v[124:125], v[96:97], s[14:15], -v[148:149]
	v_mul_f64 v[94:95], v[94:95], s[34:35]
	v_accvgpr_write_b32 a0, v0
	v_add_f64 v[112:113], v[124:125], v[112:113]
	v_fma_f64 v[124:125], v[98:99], s[2:3], -v[94:95]
	v_mul_f64 v[92:93], v[92:93], s[34:35]
	v_accvgpr_write_b32 a1, v1
	v_accvgpr_write_b32 a2, v2
	v_accvgpr_write_b32 a3, v3
	v_fmac_f64_e32 v[146:147], s[14:15], v[98:99]
	v_add_f64 v[110:111], v[124:125], v[110:111]
	v_fma_f64 v[124:125], s[2:3], v[96:97], v[92:93]
	v_fmac_f64_e32 v[94:95], s[2:3], v[98:99]
	v_fma_f64 v[92:93], v[96:97], s[2:3], -v[92:93]
	v_mul_f64 v[86:87], v[86:87], s[24:25]
	v_mul_lo_u16_e32 v0, 13, v216
	s_movk_i32 s33, 0x4f
	v_add_f64 v[114:115], v[146:147], v[114:115]
	v_add_f64 v[94:95], v[94:95], v[106:107]
	;; [unrolled: 1-line block ×3, first 2 shown]
	v_fmac_f64_e32 v[150:151], s[16:17], v[102:103]
	v_fma_f64 v[98:99], v[100:101], s[16:17], -v[152:153]
	v_fma_f64 v[104:105], v[102:103], s[20:21], -v[86:87]
	v_mul_f64 v[84:85], v[84:85], s[24:25]
	v_fmac_f64_e32 v[86:87], s[20:21], v[102:103]
	v_lshlrev_b32_e32 v215, 4, v0
	v_mul_lo_u16_sdwa v0, v216, s33 dst_sel:DWORD dst_unused:UNUSED_PAD src0_sel:BYTE_0 src1_sel:DWORD
	v_add_f64 v[96:97], v[150:151], v[114:115]
	v_add_f64 v[98:99], v[98:99], v[112:113]
	v_fma_f64 v[106:107], s[20:21], v[100:101], v[84:85]
	v_add_f64 v[86:87], v[86:87], v[94:95]
	v_fma_f64 v[84:85], v[100:101], s[20:21], -v[84:85]
	v_fmac_f64_e32 v[154:155], s[26:27], v[90:91]
	v_fma_f64 v[94:95], v[88:89], s[26:27], -v[156:157]
	v_mul_f64 v[78:79], v[78:79], s[42:43]
	v_mul_f64 v[76:77], v[76:77], s[42:43]
	v_lshrrev_b16_e32 v208, 10, v0
	v_add_f64 v[108:109], v[124:125], v[108:109]
	v_add_f64 v[84:85], v[84:85], v[92:93]
	;; [unrolled: 1-line block ×4, first 2 shown]
	v_fma_f64 v[96:97], v[90:91], s[16:17], -v[78:79]
	v_fma_f64 v[98:99], s[16:17], v[88:89], v[76:77]
	v_fmac_f64_e32 v[78:79], s[16:17], v[90:91]
	v_fma_f64 v[76:77], v[88:89], s[16:17], -v[76:77]
	v_fmac_f64_e32 v[158:159], s[2:3], v[82:83]
	v_mul_f64 v[74:75], v[74:75], s[22:23]
	v_mul_f64 v[72:73], v[72:73], s[22:23]
	v_mul_lo_u16_e32 v0, 13, v208
	v_add_f64 v[104:105], v[104:105], v[110:111]
	v_add_f64 v[106:107], v[106:107], v[108:109]
	;; [unrolled: 1-line block ×5, first 2 shown]
	v_fma_f64 v[86:87], v[80:81], s[2:3], -v[160:161]
	v_fma_f64 v[88:89], v[82:83], s[18:19], -v[74:75]
	v_fma_f64 v[90:91], s[18:19], v[80:81], v[72:73]
	v_fmac_f64_e32 v[74:75], s[18:19], v[82:83]
	v_fma_f64 v[72:73], v[80:81], s[18:19], -v[72:73]
	v_fmac_f64_e32 v[162:163], s[18:19], v[118:119]
	v_mul_f64 v[80:81], v[122:123], s[30:31]
	v_sub_u16_e32 v0, v216, v0
	v_add_f64 v[96:97], v[96:97], v[104:105]
	v_add_f64 v[98:99], v[98:99], v[106:107]
	;; [unrolled: 1-line block ×5, first 2 shown]
	v_fma_f64 v[76:77], v[118:119], s[14:15], -v[80:81]
	v_mul_f64 v[84:85], v[120:121], s[30:31]
	v_fmac_f64_e32 v[80:81], s[14:15], v[118:119]
	v_and_b32_e32 v209, 0xff, v0
	v_add_f64 v[86:87], v[86:87], v[94:95]
	v_add_f64 v[88:89], v[88:89], v[96:97]
	;; [unrolled: 1-line block ×3, first 2 shown]
	v_fma_f64 v[74:75], v[116:117], s[18:19], -v[164:165]
	v_fma_f64 v[78:79], s[14:15], v[116:117], v[84:85]
	v_add_f64 v[80:81], v[80:81], v[82:83]
	v_fma_f64 v[82:83], v[116:117], s[14:15], -v[84:85]
	v_mul_u32_u24_e32 v0, 12, v209
	v_add_f64 v[74:75], v[74:75], v[86:87]
	v_add_f64 v[76:77], v[76:77], v[88:89]
	;; [unrolled: 1-line block ×4, first 2 shown]
	v_lshlrev_b32_e32 v0, 4, v0
	s_waitcnt lgkmcnt(0)
	; wave barrier
	ds_write_b128 v215, v[52:55]
	ds_write_b128 v215, v[60:63] offset:16
	ds_write_b128 v215, v[68:71] offset:32
	ds_write_b128 v215, v[126:129] offset:48
	ds_write_b128 v215, v[134:137] offset:64
	ds_write_b128 v215, v[142:145] offset:80
	ds_write_b128 v215, v[76:79] offset:96
	ds_write_b128 v215, v[80:83] offset:112
	ds_write_b128 v215, v[72:75] offset:128
	ds_write_b128 v215, v[138:141] offset:144
	ds_write_b128 v215, v[130:133] offset:160
	ds_write_b128 v215, v[64:67] offset:176
	ds_write_b128 v215, v[56:59] offset:192
	s_waitcnt lgkmcnt(0)
	; wave barrier
	s_waitcnt lgkmcnt(0)
	global_load_dwordx4 v[64:67], v0, s[10:11]
	global_load_dwordx4 v[60:63], v0, s[10:11] offset:16
	global_load_dwordx4 v[56:59], v0, s[10:11] offset:32
	;; [unrolled: 1-line block ×11, first 2 shown]
	ds_read_b128 v[100:103], v212 offset:832
	ds_read_b128 v[104:107], v212 offset:1664
	;; [unrolled: 1-line block ×7, first 2 shown]
	ds_read_b128 v[128:131], v212
	v_mul_u32_u24_e32 v0, 0xa9, v208
	v_add_lshl_u32 v217, v0, v209, 4
	v_accvgpr_write_b32 a4, v4
	v_accvgpr_write_b32 a5, v5
	;; [unrolled: 1-line block ×4, first 2 shown]
	v_cmp_gt_u16_e32 vcc, 13, v216
	s_waitcnt vmcnt(11) lgkmcnt(7)
	v_mul_f64 v[132:133], v[102:103], v[66:67]
	v_fma_f64 v[132:133], v[100:101], v[64:65], -v[132:133]
	v_mul_f64 v[134:135], v[100:101], v[66:67]
	s_waitcnt vmcnt(10) lgkmcnt(6)
	v_mul_f64 v[100:101], v[106:107], v[62:63]
	v_fma_f64 v[136:137], v[104:105], v[60:61], -v[100:101]
	s_waitcnt vmcnt(9) lgkmcnt(5)
	v_mul_f64 v[100:101], v[110:111], v[58:59]
	v_fma_f64 v[138:139], v[108:109], v[56:57], -v[100:101]
	;; [unrolled: 3-line block ×3, first 2 shown]
	v_mul_f64 v[170:171], v[112:113], v[54:55]
	s_waitcnt vmcnt(7) lgkmcnt(3)
	v_mul_f64 v[100:101], v[118:119], v[78:79]
	v_mul_f64 v[144:145], v[104:105], v[62:63]
	v_fmac_f64_e32 v[170:171], v[114:115], v[52:53]
	v_fma_f64 v[114:115], v[116:117], v[76:77], -v[100:101]
	s_waitcnt vmcnt(6) lgkmcnt(2)
	v_mul_f64 v[100:101], v[122:123], v[74:75]
	v_fmac_f64_e32 v[134:135], v[102:103], v[64:65]
	v_fmac_f64_e32 v[144:145], v[106:107], v[60:61]
	v_fma_f64 v[106:107], v[120:121], v[72:73], -v[100:101]
	ds_read_b128 v[100:103], v212 offset:6656
	v_mul_f64 v[112:113], v[116:117], v[78:79]
	v_fmac_f64_e32 v[112:113], v[118:119], v[76:77]
	ds_read_b128 v[116:119], v212 offset:7488
	v_mul_f64 v[104:105], v[120:121], v[74:75]
	s_waitcnt vmcnt(4) lgkmcnt(1)
	v_mul_f64 v[120:121], v[102:103], v[82:83]
	v_mul_f64 v[148:149], v[100:101], v[82:83]
	v_fma_f64 v[150:151], v[100:101], v[80:81], -v[120:121]
	v_fmac_f64_e32 v[148:149], v[102:103], v[80:81]
	ds_read_b128 v[100:103], v212 offset:8320
	s_waitcnt vmcnt(3) lgkmcnt(1)
	v_mul_f64 v[120:121], v[118:119], v[86:87]
	v_mul_f64 v[176:177], v[116:117], v[86:87]
	v_fma_f64 v[168:169], v[116:117], v[84:85], -v[120:121]
	v_fmac_f64_e32 v[176:177], v[118:119], v[84:85]
	ds_read_b128 v[116:119], v212 offset:9152
	s_waitcnt vmcnt(2) lgkmcnt(1)
	v_mul_f64 v[120:121], v[102:103], v[90:91]
	v_mul_f64 v[178:179], v[100:101], v[90:91]
	v_fma_f64 v[156:157], v[100:101], v[88:89], -v[120:121]
	v_fmac_f64_e32 v[178:179], v[102:103], v[88:89]
	ds_read_b128 v[100:103], v212 offset:9984
	s_waitcnt vmcnt(1) lgkmcnt(1)
	v_mul_f64 v[120:121], v[118:119], v[94:95]
	v_fmac_f64_e32 v[104:105], v[122:123], v[72:73]
	v_fma_f64 v[122:123], v[116:117], v[92:93], -v[120:121]
	v_mul_f64 v[184:185], v[116:117], v[94:95]
	s_waitcnt vmcnt(0) lgkmcnt(0)
	v_mul_f64 v[116:117], v[102:103], v[98:99]
	v_fmac_f64_e32 v[184:185], v[118:119], v[92:93]
	v_fma_f64 v[116:117], v[100:101], v[96:97], -v[116:117]
	v_mul_f64 v[118:119], v[100:101], v[98:99]
	v_add_f64 v[100:101], v[128:129], v[132:133]
	v_mul_f64 v[146:147], v[108:109], v[58:59]
	v_fmac_f64_e32 v[118:119], v[102:103], v[96:97]
	v_add_f64 v[100:101], v[100:101], v[136:137]
	v_add_f64 v[102:103], v[130:131], v[134:135]
	v_fmac_f64_e32 v[146:147], v[110:111], v[56:57]
	v_add_f64 v[102:103], v[102:103], v[144:145]
	v_add_f64 v[100:101], v[100:101], v[138:139]
	;; [unrolled: 1-line block ×4, first 2 shown]
	v_mul_f64 v[108:109], v[126:127], v[70:71]
	v_add_f64 v[102:103], v[102:103], v[170:171]
	v_add_f64 v[100:101], v[100:101], v[114:115]
	v_fma_f64 v[110:111], v[124:125], v[68:69], -v[108:109]
	v_mul_f64 v[108:109], v[124:125], v[70:71]
	v_add_f64 v[102:103], v[102:103], v[112:113]
	v_add_f64 v[100:101], v[100:101], v[106:107]
	v_fmac_f64_e32 v[108:109], v[126:127], v[68:69]
	v_add_f64 v[102:103], v[102:103], v[104:105]
	v_add_f64 v[100:101], v[100:101], v[110:111]
	;; [unrolled: 1-line block ×13, first 2 shown]
	v_add_f64 v[116:117], v[132:133], -v[116:117]
	v_add_f64 v[102:103], v[102:103], v[118:119]
	v_add_f64 v[124:125], v[134:135], v[118:119]
	v_add_f64 v[118:119], v[134:135], -v[118:119]
	v_mul_f64 v[172:173], v[116:117], s[28:29]
	v_mul_f64 v[126:127], v[118:119], s[36:37]
	v_mul_f64 v[134:135], v[118:119], s[12:13]
	v_mul_f64 v[142:143], v[118:119], s[28:29]
	v_mul_f64 v[154:155], v[118:119], s[22:23]
	v_mul_f64 v[186:187], v[118:119], s[24:25]
	v_mul_f64 v[118:119], v[118:119], s[38:39]
	v_fma_f64 v[200:201], s[14:15], v[124:125], v[172:173]
	v_fma_f64 v[202:203], v[124:125], s[14:15], -v[172:173]
	v_mul_f64 v[172:173], v[116:117], s[22:23]
	v_fma_f64 v[132:133], v[120:121], s[2:3], -v[126:127]
	v_fmac_f64_e32 v[126:127], s[2:3], v[120:121]
	v_fma_f64 v[140:141], v[120:121], s[16:17], -v[134:135]
	v_fmac_f64_e32 v[134:135], s[16:17], v[120:121]
	v_fma_f64 v[152:153], v[120:121], s[14:15], -v[142:143]
	v_fmac_f64_e32 v[142:143], s[14:15], v[120:121]
	v_fma_f64 v[160:161], v[120:121], s[18:19], -v[154:155]
	v_fmac_f64_e32 v[154:155], s[18:19], v[120:121]
	v_fma_f64 v[192:193], v[120:121], s[20:21], -v[186:187]
	v_fmac_f64_e32 v[186:187], s[20:21], v[120:121]
	v_fma_f64 v[194:195], v[120:121], s[26:27], -v[118:119]
	v_fmac_f64_e32 v[118:119], s[26:27], v[120:121]
	v_mul_f64 v[120:121], v[116:117], s[36:37]
	v_mul_f64 v[164:165], v[116:117], s[12:13]
	v_fma_f64 v[204:205], s[18:19], v[124:125], v[172:173]
	v_fma_f64 v[206:207], v[124:125], s[18:19], -v[172:173]
	v_mul_f64 v[172:173], v[116:117], s[24:25]
	v_mul_f64 v[116:117], v[116:117], s[38:39]
	v_fma_f64 v[162:163], s[2:3], v[124:125], v[120:121]
	v_fma_f64 v[120:121], v[124:125], s[2:3], -v[120:121]
	v_fma_f64 v[166:167], s[16:17], v[124:125], v[164:165]
	v_fma_f64 v[164:165], v[124:125], s[16:17], -v[164:165]
	;; [unrolled: 2-line block ×4, first 2 shown]
	v_add_f64 v[222:223], v[128:129], v[132:133]
	v_add_f64 v[224:225], v[130:131], v[162:163]
	;; [unrolled: 1-line block ×16, first 2 shown]
	v_add_f64 v[130:131], v[144:145], -v[184:185]
	v_add_f64 v[198:199], v[128:129], v[126:127]
	v_add_f64 v[182:183], v[128:129], v[134:135]
	;; [unrolled: 1-line block ×9, first 2 shown]
	v_add_f64 v[128:129], v[136:137], -v[122:123]
	v_mul_f64 v[204:205], v[130:131], s[12:13]
	v_add_f64 v[122:123], v[144:145], v[184:185]
	v_fma_f64 v[136:137], v[120:121], s[16:17], -v[204:205]
	v_mul_f64 v[206:207], v[128:129], s[12:13]
	v_add_f64 v[184:185], v[136:137], v[222:223]
	v_fma_f64 v[136:137], s[16:17], v[122:123], v[206:207]
	v_add_f64 v[186:187], v[136:137], v[224:225]
	v_add_f64 v[136:137], v[138:139], v[156:157]
	v_add_f64 v[144:145], v[138:139], -v[156:157]
	v_add_f64 v[138:139], v[146:147], v[178:179]
	v_add_f64 v[146:147], v[146:147], -v[178:179]
	v_mul_f64 v[210:211], v[146:147], s[28:29]
	v_fma_f64 v[156:157], v[136:137], s[14:15], -v[210:211]
	v_mul_f64 v[218:219], v[144:145], s[28:29]
	v_add_f64 v[178:179], v[156:157], v[184:185]
	v_fma_f64 v[156:157], s[14:15], v[138:139], v[218:219]
	v_add_f64 v[184:185], v[156:157], v[186:187]
	v_add_f64 v[156:157], v[158:159], v[168:169]
	v_add_f64 v[168:169], v[158:159], -v[168:169]
	v_add_f64 v[158:159], v[170:171], v[176:177]
	v_add_f64 v[170:171], v[170:171], -v[176:177]
	v_mul_f64 v[220:221], v[170:171], s[22:23]
	v_fma_f64 v[176:177], v[156:157], s[18:19], -v[220:221]
	v_mul_f64 v[222:223], v[168:169], s[22:23]
	v_add_f64 v[192:193], v[176:177], v[178:179]
	v_fma_f64 v[176:177], s[18:19], v[158:159], v[222:223]
	v_add_f64 v[194:195], v[176:177], v[184:185]
	v_add_f64 v[184:185], v[114:115], -v[150:151]
	v_add_f64 v[186:187], v[112:113], -v[148:149]
	v_add_f64 v[176:177], v[114:115], v[150:151]
	v_add_f64 v[178:179], v[112:113], v[148:149]
	v_mul_f64 v[112:113], v[186:187], s[24:25]
	v_mul_f64 v[148:149], v[184:185], s[24:25]
	v_fma_f64 v[114:115], v[176:177], s[20:21], -v[112:113]
	v_fma_f64 v[150:151], s[20:21], v[178:179], v[148:149]
	v_add_f64 v[200:201], v[106:107], -v[110:111]
	v_add_f64 v[202:203], v[104:105], -v[108:109]
	v_add_f64 v[114:115], v[114:115], v[192:193]
	v_add_f64 v[150:151], v[150:151], v[194:195]
	;; [unrolled: 1-line block ×4, first 2 shown]
	v_mul_f64 v[108:109], v[202:203], s[38:39]
	v_mul_f64 v[110:111], v[200:201], s[38:39]
	v_fma_f64 v[104:105], v[194:195], s[26:27], -v[108:109]
	v_fma_f64 v[106:107], s[26:27], v[192:193], v[110:111]
	v_fmac_f64_e32 v[204:205], s[16:17], v[120:121]
	v_add_f64 v[104:105], v[104:105], v[114:115]
	v_add_f64 v[106:107], v[106:107], v[150:151]
	v_add_f64 v[114:115], v[204:205], v[198:199]
	v_fma_f64 v[150:151], v[122:123], s[16:17], -v[206:207]
	v_fmac_f64_e32 v[210:211], s[14:15], v[136:137]
	v_add_f64 v[150:151], v[150:151], v[196:197]
	v_add_f64 v[114:115], v[210:211], v[114:115]
	v_fma_f64 v[196:197], v[138:139], s[14:15], -v[218:219]
	v_fmac_f64_e32 v[220:221], s[18:19], v[156:157]
	v_add_f64 v[150:151], v[196:197], v[150:151]
	v_add_f64 v[114:115], v[220:221], v[114:115]
	;; [unrolled: 4-line block ×4, first 2 shown]
	v_fma_f64 v[108:109], v[192:193], s[26:27], -v[110:111]
	v_add_f64 v[150:151], v[108:109], v[114:115]
	v_mul_f64 v[108:109], v[130:131], s[22:23]
	v_fma_f64 v[110:111], v[120:121], s[18:19], -v[108:109]
	v_add_f64 v[110:111], v[110:111], v[190:191]
	v_mul_f64 v[190:191], v[128:129], s[22:23]
	v_fma_f64 v[112:113], s[18:19], v[122:123], v[190:191]
	v_add_f64 v[112:113], v[112:113], v[188:189]
	v_mul_f64 v[188:189], v[146:147], s[38:39]
	v_fma_f64 v[114:115], v[136:137], s[26:27], -v[188:189]
	v_mul_f64 v[196:197], v[144:145], s[38:39]
	v_add_f64 v[110:111], v[114:115], v[110:111]
	v_fma_f64 v[114:115], s[26:27], v[138:139], v[196:197]
	v_mul_f64 v[198:199], v[170:171], s[40:41]
	v_add_f64 v[112:113], v[114:115], v[112:113]
	v_fma_f64 v[114:115], v[156:157], s[20:21], -v[198:199]
	v_mul_f64 v[204:205], v[168:169], s[40:41]
	v_add_f64 v[110:111], v[114:115], v[110:111]
	v_fma_f64 v[114:115], s[20:21], v[158:159], v[204:205]
	v_mul_f64 v[206:207], v[186:187], s[30:31]
	v_fmac_f64_e32 v[108:109], s[18:19], v[120:121]
	v_add_f64 v[112:113], v[114:115], v[112:113]
	v_fma_f64 v[114:115], v[176:177], s[14:15], -v[206:207]
	v_mul_f64 v[210:211], v[184:185], s[30:31]
	v_add_f64 v[108:109], v[108:109], v[182:183]
	v_fma_f64 v[182:183], v[122:123], s[18:19], -v[190:191]
	v_add_f64 v[110:111], v[114:115], v[110:111]
	v_fma_f64 v[114:115], s[14:15], v[178:179], v[210:211]
	v_mul_f64 v[218:219], v[202:203], s[34:35]
	v_add_f64 v[180:181], v[182:183], v[180:181]
	v_fma_f64 v[182:183], v[138:139], s[26:27], -v[196:197]
	v_add_f64 v[114:115], v[114:115], v[112:113]
	v_fma_f64 v[112:113], v[194:195], s[2:3], -v[218:219]
	;; [unrolled: 2-line block ×3, first 2 shown]
	v_add_f64 v[112:113], v[112:113], v[110:111]
	v_mul_f64 v[110:111], v[200:201], s[34:35]
	v_add_f64 v[180:181], v[182:183], v[180:181]
	v_fma_f64 v[182:183], v[178:179], s[14:15], -v[210:211]
	v_fma_f64 v[220:221], s[2:3], v[192:193], v[110:111]
	v_add_f64 v[180:181], v[182:183], v[180:181]
	v_fma_f64 v[110:111], v[192:193], s[2:3], -v[110:111]
	v_add_f64 v[110:111], v[110:111], v[180:181]
	v_mul_f64 v[180:181], v[130:131], s[38:39]
	v_fma_f64 v[182:183], v[120:121], s[26:27], -v[180:181]
	v_fmac_f64_e32 v[188:189], s[26:27], v[136:137]
	v_add_f64 v[174:175], v[182:183], v[174:175]
	v_mul_f64 v[182:183], v[128:129], s[38:39]
	v_add_f64 v[108:109], v[188:189], v[108:109]
	v_fma_f64 v[188:189], s[26:27], v[122:123], v[182:183]
	v_add_f64 v[172:173], v[188:189], v[172:173]
	v_mul_f64 v[188:189], v[146:147], s[46:47]
	v_fma_f64 v[190:191], v[136:137], s[18:19], -v[188:189]
	v_add_f64 v[174:175], v[190:191], v[174:175]
	v_mul_f64 v[190:191], v[144:145], s[46:47]
	v_fma_f64 v[196:197], s[18:19], v[138:139], v[190:191]
	v_fmac_f64_e32 v[198:199], s[20:21], v[156:157]
	v_add_f64 v[172:173], v[196:197], v[172:173]
	v_mul_f64 v[196:197], v[170:171], s[34:35]
	v_add_f64 v[108:109], v[198:199], v[108:109]
	v_fma_f64 v[198:199], v[156:157], s[2:3], -v[196:197]
	v_add_f64 v[174:175], v[198:199], v[174:175]
	v_mul_f64 v[198:199], v[168:169], s[34:35]
	v_fma_f64 v[204:205], s[2:3], v[158:159], v[198:199]
	v_fmac_f64_e32 v[206:207], s[14:15], v[176:177]
	v_add_f64 v[172:173], v[204:205], v[172:173]
	v_mul_f64 v[204:205], v[186:187], s[12:13]
	v_fmac_f64_e32 v[180:181], s[26:27], v[120:121]
	v_add_f64 v[108:109], v[206:207], v[108:109]
	v_fma_f64 v[206:207], v[176:177], s[16:17], -v[204:205]
	v_add_f64 v[166:167], v[180:181], v[166:167]
	v_fma_f64 v[180:181], v[122:123], s[26:27], -v[182:183]
	v_fmac_f64_e32 v[188:189], s[18:19], v[136:137]
	v_fmac_f64_e32 v[218:219], s[2:3], v[194:195]
	v_add_f64 v[174:175], v[206:207], v[174:175]
	v_mul_f64 v[206:207], v[184:185], s[12:13]
	v_add_f64 v[164:165], v[180:181], v[164:165]
	v_add_f64 v[166:167], v[188:189], v[166:167]
	v_fma_f64 v[180:181], v[138:139], s[18:19], -v[190:191]
	v_fmac_f64_e32 v[196:197], s[2:3], v[156:157]
	v_add_f64 v[108:109], v[218:219], v[108:109]
	v_fma_f64 v[210:211], s[16:17], v[178:179], v[206:207]
	v_mul_f64 v[218:219], v[202:203], s[24:25]
	v_add_f64 v[164:165], v[180:181], v[164:165]
	v_add_f64 v[166:167], v[196:197], v[166:167]
	v_fma_f64 v[180:181], v[158:159], s[2:3], -v[198:199]
	v_fmac_f64_e32 v[204:205], s[16:17], v[176:177]
	v_add_f64 v[114:115], v[220:221], v[114:115]
	v_add_f64 v[210:211], v[210:211], v[172:173]
	v_fma_f64 v[172:173], v[194:195], s[20:21], -v[218:219]
	v_mul_f64 v[220:221], v[200:201], s[24:25]
	v_add_f64 v[164:165], v[180:181], v[164:165]
	v_add_f64 v[166:167], v[204:205], v[166:167]
	v_fma_f64 v[180:181], v[178:179], s[16:17], -v[206:207]
	v_fmac_f64_e32 v[218:219], s[20:21], v[194:195]
	v_add_f64 v[180:181], v[180:181], v[164:165]
	v_add_f64 v[164:165], v[218:219], v[166:167]
	v_fma_f64 v[166:167], v[192:193], s[20:21], -v[220:221]
	v_add_f64 v[166:167], v[166:167], v[180:181]
	v_mul_f64 v[180:181], v[130:131], s[40:41]
	v_fma_f64 v[182:183], v[120:121], s[20:21], -v[180:181]
	v_add_f64 v[162:163], v[182:183], v[162:163]
	v_mul_f64 v[182:183], v[128:129], s[40:41]
	v_fma_f64 v[188:189], s[20:21], v[122:123], v[182:183]
	v_add_f64 v[160:161], v[188:189], v[160:161]
	v_mul_f64 v[188:189], v[146:147], s[34:35]
	v_fma_f64 v[190:191], v[136:137], s[2:3], -v[188:189]
	v_add_f64 v[162:163], v[190:191], v[162:163]
	v_mul_f64 v[190:191], v[144:145], s[34:35]
	v_fma_f64 v[196:197], s[2:3], v[138:139], v[190:191]
	;; [unrolled: 6-line block ×3, first 2 shown]
	v_add_f64 v[160:161], v[204:205], v[160:161]
	v_mul_f64 v[204:205], v[186:187], s[44:45]
	v_fmac_f64_e32 v[180:181], s[20:21], v[120:121]
	v_fma_f64 v[206:207], v[176:177], s[26:27], -v[204:205]
	v_add_f64 v[154:155], v[180:181], v[154:155]
	v_fma_f64 v[180:181], v[122:123], s[20:21], -v[182:183]
	v_fmac_f64_e32 v[188:189], s[2:3], v[136:137]
	v_add_f64 v[172:173], v[172:173], v[174:175]
	v_fma_f64 v[174:175], s[20:21], v[192:193], v[220:221]
	v_add_f64 v[162:163], v[206:207], v[162:163]
	v_mul_f64 v[206:207], v[184:185], s[44:45]
	v_add_f64 v[152:153], v[180:181], v[152:153]
	v_add_f64 v[154:155], v[188:189], v[154:155]
	v_fma_f64 v[180:181], v[138:139], s[2:3], -v[190:191]
	v_fmac_f64_e32 v[196:197], s[14:15], v[156:157]
	v_add_f64 v[174:175], v[174:175], v[210:211]
	v_fma_f64 v[210:211], s[26:27], v[178:179], v[206:207]
	v_mul_f64 v[218:219], v[202:203], s[42:43]
	v_add_f64 v[152:153], v[180:181], v[152:153]
	v_add_f64 v[154:155], v[196:197], v[154:155]
	v_fma_f64 v[180:181], v[158:159], s[14:15], -v[198:199]
	v_fmac_f64_e32 v[204:205], s[26:27], v[176:177]
	v_add_f64 v[210:211], v[210:211], v[160:161]
	v_fma_f64 v[160:161], v[194:195], s[16:17], -v[218:219]
	v_mul_f64 v[220:221], v[200:201], s[42:43]
	v_add_f64 v[152:153], v[180:181], v[152:153]
	v_add_f64 v[154:155], v[204:205], v[154:155]
	v_fma_f64 v[180:181], v[178:179], s[26:27], -v[206:207]
	v_fmac_f64_e32 v[218:219], s[16:17], v[194:195]
	v_add_f64 v[180:181], v[180:181], v[152:153]
	v_add_f64 v[152:153], v[218:219], v[154:155]
	v_fma_f64 v[154:155], v[192:193], s[16:17], -v[220:221]
	v_add_f64 v[154:155], v[154:155], v[180:181]
	v_mul_f64 v[180:181], v[130:131], s[30:31]
	v_fma_f64 v[182:183], v[120:121], s[14:15], -v[180:181]
	v_add_f64 v[142:143], v[182:183], v[142:143]
	v_mul_f64 v[182:183], v[128:129], s[30:31]
	v_fma_f64 v[188:189], s[14:15], v[122:123], v[182:183]
	v_add_f64 v[140:141], v[188:189], v[140:141]
	v_mul_f64 v[188:189], v[146:147], s[12:13]
	v_fma_f64 v[190:191], v[136:137], s[16:17], -v[188:189]
	v_add_f64 v[142:143], v[190:191], v[142:143]
	v_mul_f64 v[190:191], v[144:145], s[12:13]
	v_fma_f64 v[196:197], s[16:17], v[138:139], v[190:191]
	;; [unrolled: 6-line block ×3, first 2 shown]
	v_add_f64 v[140:141], v[204:205], v[140:141]
	v_mul_f64 v[204:205], v[186:187], s[34:35]
	v_fmac_f64_e32 v[180:181], s[14:15], v[120:121]
	v_fma_f64 v[206:207], v[176:177], s[2:3], -v[204:205]
	v_add_f64 v[134:135], v[180:181], v[134:135]
	v_fma_f64 v[180:181], v[122:123], s[14:15], -v[182:183]
	v_fmac_f64_e32 v[188:189], s[16:17], v[136:137]
	v_add_f64 v[160:161], v[160:161], v[162:163]
	v_fma_f64 v[162:163], s[16:17], v[192:193], v[220:221]
	v_add_f64 v[142:143], v[206:207], v[142:143]
	v_mul_f64 v[206:207], v[184:185], s[34:35]
	v_add_f64 v[132:133], v[180:181], v[132:133]
	v_add_f64 v[134:135], v[188:189], v[134:135]
	v_fma_f64 v[180:181], v[138:139], s[16:17], -v[190:191]
	v_fmac_f64_e32 v[196:197], s[26:27], v[156:157]
	v_add_f64 v[162:163], v[162:163], v[210:211]
	v_fma_f64 v[210:211], s[2:3], v[178:179], v[206:207]
	v_mul_f64 v[218:219], v[202:203], s[22:23]
	v_add_f64 v[132:133], v[180:181], v[132:133]
	v_add_f64 v[134:135], v[196:197], v[134:135]
	v_fma_f64 v[180:181], v[158:159], s[26:27], -v[198:199]
	v_fmac_f64_e32 v[204:205], s[2:3], v[176:177]
	v_add_f64 v[210:211], v[210:211], v[140:141]
	v_fma_f64 v[140:141], v[194:195], s[18:19], -v[218:219]
	v_mul_f64 v[220:221], v[200:201], s[22:23]
	v_add_f64 v[132:133], v[180:181], v[132:133]
	v_add_f64 v[134:135], v[204:205], v[134:135]
	v_fma_f64 v[180:181], v[178:179], s[2:3], -v[206:207]
	v_fmac_f64_e32 v[218:219], s[18:19], v[194:195]
	v_add_f64 v[180:181], v[180:181], v[132:133]
	v_add_f64 v[132:133], v[218:219], v[134:135]
	v_fma_f64 v[134:135], v[192:193], s[18:19], -v[220:221]
	v_mul_f64 v[130:131], v[130:131], s[34:35]
	v_add_f64 v[134:135], v[134:135], v[180:181]
	v_fma_f64 v[180:181], v[120:121], s[2:3], -v[130:131]
	v_mul_f64 v[128:129], v[128:129], s[34:35]
	v_add_f64 v[126:127], v[180:181], v[126:127]
	v_fma_f64 v[180:181], s[2:3], v[122:123], v[128:129]
	v_mul_f64 v[146:147], v[146:147], s[24:25]
	v_add_f64 v[124:125], v[180:181], v[124:125]
	v_fma_f64 v[180:181], v[136:137], s[20:21], -v[146:147]
	v_mul_f64 v[144:145], v[144:145], s[24:25]
	v_add_f64 v[126:127], v[180:181], v[126:127]
	v_fma_f64 v[180:181], s[20:21], v[138:139], v[144:145]
	;; [unrolled: 6-line block ×3, first 2 shown]
	v_add_f64 v[124:125], v[180:181], v[124:125]
	v_mul_f64 v[180:181], v[186:187], s[22:23]
	v_fma_f64 v[182:183], v[176:177], s[18:19], -v[180:181]
	v_fmac_f64_e32 v[130:131], s[2:3], v[120:121]
	v_fma_f64 v[120:121], v[122:123], s[2:3], -v[128:129]
	v_add_f64 v[126:127], v[182:183], v[126:127]
	v_mul_f64 v[182:183], v[184:185], s[22:23]
	v_add_f64 v[118:119], v[130:131], v[118:119]
	v_add_f64 v[116:117], v[120:121], v[116:117]
	v_fmac_f64_e32 v[146:147], s[20:21], v[136:137]
	v_fma_f64 v[120:121], v[138:139], s[20:21], -v[144:145]
	v_fma_f64 v[184:185], s[18:19], v[178:179], v[182:183]
	v_mul_f64 v[186:187], v[202:203], s[30:31]
	v_add_f64 v[118:119], v[146:147], v[118:119]
	v_add_f64 v[116:117], v[120:121], v[116:117]
	v_fmac_f64_e32 v[170:171], s[16:17], v[156:157]
	v_fma_f64 v[120:121], v[158:159], s[16:17], -v[168:169]
	v_add_f64 v[184:185], v[184:185], v[124:125]
	v_fma_f64 v[124:125], v[194:195], s[14:15], -v[186:187]
	v_mul_f64 v[188:189], v[200:201], s[30:31]
	v_add_f64 v[118:119], v[170:171], v[118:119]
	v_add_f64 v[116:117], v[120:121], v[116:117]
	v_fmac_f64_e32 v[180:181], s[18:19], v[176:177]
	v_fma_f64 v[120:121], v[178:179], s[18:19], -v[182:183]
	v_add_f64 v[140:141], v[140:141], v[142:143]
	v_fma_f64 v[142:143], s[18:19], v[192:193], v[220:221]
	v_add_f64 v[124:125], v[124:125], v[126:127]
	v_fma_f64 v[126:127], s[14:15], v[192:193], v[188:189]
	v_add_f64 v[118:119], v[180:181], v[118:119]
	v_add_f64 v[120:121], v[120:121], v[116:117]
	v_fmac_f64_e32 v[186:187], s[14:15], v[194:195]
	v_fma_f64 v[122:123], v[192:193], s[14:15], -v[188:189]
	v_add_f64 v[142:143], v[142:143], v[210:211]
	v_add_f64 v[126:127], v[126:127], v[184:185]
	;; [unrolled: 1-line block ×4, first 2 shown]
	s_waitcnt lgkmcnt(0)
	; wave barrier
	ds_write_b128 v217, v[100:103]
	ds_write_b128 v217, v[104:107] offset:208
	ds_write_b128 v217, v[112:115] offset:416
	;; [unrolled: 1-line block ×12, first 2 shown]
	s_waitcnt lgkmcnt(0)
	; wave barrier
	s_waitcnt lgkmcnt(0)
	ds_read_b128 v[160:163], v212
	ds_read_b128 v[156:159], v212 offset:832
	ds_read_b128 v[200:203], v212 offset:5408
	;; [unrolled: 1-line block ×11, first 2 shown]
	s_load_dwordx2 s[2:3], s[0:1], 0x38
                                        ; implicit-def: $vgpr184_vgpr185
                                        ; implicit-def: $vgpr168_vgpr169
                                        ; implicit-def: $vgpr164_vgpr165
	s_and_saveexec_b64 s[0:1], vcc
	s_cbranch_execz .LBB0_3
; %bb.2:
	ds_read_b128 v[148:151], v212 offset:2496
	ds_read_b128 v[164:167], v212 offset:5200
	;; [unrolled: 1-line block ×4, first 2 shown]
.LBB0_3:
	s_or_b64 exec, exec, s[0:1]
	v_mad_u64_u32 v[100:101], s[0:1], v216, 48, s[10:11]
	s_mov_b64 s[0:1], 0x9c0
	global_load_dwordx4 v[120:123], v[100:101], off offset:2496
	global_load_dwordx4 v[116:119], v[100:101], off offset:2512
	;; [unrolled: 1-line block ×3, first 2 shown]
	v_lshl_add_u64 v[100:101], v[100:101], 0, s[0:1]
	global_load_dwordx4 v[132:135], v[100:101], off offset:2496
	global_load_dwordx4 v[128:131], v[100:101], off offset:2512
	;; [unrolled: 1-line block ×3, first 2 shown]
	v_lshl_add_u64 v[100:101], v[100:101], 0, s[0:1]
	v_add_u32_e32 v0, 0x9c, v216
	v_add_u32_e32 v1, -13, v216
	global_load_dwordx4 v[144:147], v[100:101], off offset:2496
	global_load_dwordx4 v[140:143], v[100:101], off offset:2512
	;; [unrolled: 1-line block ×3, first 2 shown]
	v_cndmask_b32_e32 v0, v1, v0, vcc
	v_mul_hi_i32_i24_e32 v101, 48, v0
	v_mul_i32_i24_e32 v100, 48, v0
	v_lshl_add_u64 v[100:101], s[10:11], 0, v[100:101]
	global_load_dwordx4 v[104:107], v[100:101], off offset:2496
	global_load_dwordx4 v[108:111], v[100:101], off offset:2512
	s_nop 0
	global_load_dwordx4 v[100:103], v[100:101], off offset:2528
	s_waitcnt vmcnt(11) lgkmcnt(0)
	v_mul_f64 v[218:219], v[206:207], v[122:123]
	v_mul_f64 v[220:221], v[204:205], v[122:123]
	s_waitcnt vmcnt(10)
	v_mul_f64 v[222:223], v[202:203], v[118:119]
	v_mul_f64 v[224:225], v[200:201], v[118:119]
	s_waitcnt vmcnt(9)
	v_mul_f64 v[226:227], v[210:211], v[114:115]
	v_mul_f64 v[228:229], v[208:209], v[114:115]
	v_fma_f64 v[204:205], v[204:205], v[120:121], -v[218:219]
	v_fmac_f64_e32 v[220:221], v[206:207], v[120:121]
	v_fma_f64 v[200:201], v[200:201], v[116:117], -v[222:223]
	v_fmac_f64_e32 v[224:225], v[202:203], v[116:117]
	;; [unrolled: 2-line block ×3, first 2 shown]
	s_waitcnt vmcnt(8)
	v_mul_f64 v[208:209], v[192:193], v[134:135]
	s_waitcnt vmcnt(7)
	v_mul_f64 v[218:219], v[188:189], v[130:131]
	;; [unrolled: 2-line block ×3, first 2 shown]
	v_mul_f64 v[226:227], v[196:197], v[126:127]
	v_mul_f64 v[206:207], v[194:195], v[134:135]
	;; [unrolled: 1-line block ×3, first 2 shown]
	v_fmac_f64_e32 v[208:209], v[194:195], v[132:133]
	v_fmac_f64_e32 v[218:219], v[190:191], v[128:129]
	v_fma_f64 v[190:191], v[196:197], v[124:125], -v[222:223]
	v_fmac_f64_e32 v[226:227], v[198:199], v[124:125]
	s_waitcnt vmcnt(5)
	v_mul_f64 v[194:195], v[174:175], v[146:147]
	s_waitcnt vmcnt(4)
	v_mul_f64 v[198:199], v[178:179], v[142:143]
	;; [unrolled: 2-line block ×3, first 2 shown]
	v_add_f64 v[200:201], v[160:161], -v[200:201]
	v_add_f64 v[224:225], v[162:163], -v[224:225]
	;; [unrolled: 1-line block ×4, first 2 shown]
	v_fma_f64 v[192:193], v[192:193], v[132:133], -v[206:207]
	v_fma_f64 v[188:189], v[188:189], v[128:129], -v[210:211]
	v_mul_f64 v[206:207], v[176:177], v[142:143]
	v_mul_f64 v[210:211], v[182:183], v[138:139]
	v_fma_f64 v[230:231], v[172:173], v[144:145], -v[194:195]
	v_fma_f64 v[198:199], v[176:177], v[140:141], -v[198:199]
	v_fmac_f64_e32 v[222:223], v[182:183], v[136:137]
	s_waitcnt vmcnt(2)
	v_mul_f64 v[176:177], v[166:167], v[106:107]
	v_mul_f64 v[232:233], v[164:165], v[106:107]
	v_fma_f64 v[160:161], v[160:161], 2.0, -v[200:201]
	v_fma_f64 v[162:163], v[162:163], 2.0, -v[224:225]
	v_fma_f64 v[182:183], v[204:205], 2.0, -v[202:203]
	v_fma_f64 v[194:195], v[220:221], 2.0, -v[228:229]
	v_fmac_f64_e32 v[206:207], v[178:179], v[140:141]
	s_waitcnt vmcnt(1)
	v_mul_f64 v[178:179], v[170:171], v[110:111]
	v_fma_f64 v[220:221], v[164:165], v[104:105], -v[176:177]
	v_fmac_f64_e32 v[232:233], v[166:167], v[104:105]
	v_add_f64 v[164:165], v[160:161], -v[182:183]
	v_add_f64 v[166:167], v[162:163], -v[194:195]
	v_mul_f64 v[196:197], v[172:173], v[146:147]
	v_fma_f64 v[210:211], v[180:181], v[136:137], -v[210:211]
	s_waitcnt vmcnt(0)
	v_mul_f64 v[180:181], v[186:187], v[102:103]
	v_add_f64 v[172:173], v[200:201], -v[228:229]
	v_fma_f64 v[228:229], v[168:169], v[108:109], -v[178:179]
	v_fma_f64 v[176:177], v[160:161], 2.0, -v[164:165]
	v_fma_f64 v[178:179], v[162:163], 2.0, -v[166:167]
	v_add_f64 v[160:161], v[156:157], -v[188:189]
	v_add_f64 v[162:163], v[158:159], -v[218:219]
	;; [unrolled: 1-line block ×4, first 2 shown]
	v_fma_f64 v[238:239], v[184:185], v[100:101], -v[180:181]
	v_fma_f64 v[156:157], v[156:157], 2.0, -v[160:161]
	v_fma_f64 v[158:159], v[158:159], 2.0, -v[162:163]
	;; [unrolled: 1-line block ×4, first 2 shown]
	v_fmac_f64_e32 v[196:197], v[174:175], v[144:145]
	v_mul_f64 v[234:235], v[168:169], v[110:111]
	v_mul_f64 v[236:237], v[184:185], v[102:103]
	v_add_f64 v[180:181], v[156:157], -v[180:181]
	v_add_f64 v[182:183], v[158:159], -v[182:183]
	;; [unrolled: 1-line block ×3, first 2 shown]
	v_add_f64 v[190:191], v[162:163], v[190:191]
	v_fmac_f64_e32 v[234:235], v[170:171], v[108:109]
	v_fmac_f64_e32 v[236:237], v[186:187], v[100:101]
	v_fma_f64 v[184:185], v[156:157], 2.0, -v[180:181]
	v_fma_f64 v[186:187], v[158:159], 2.0, -v[182:183]
	;; [unrolled: 1-line block ×4, first 2 shown]
	v_add_f64 v[156:157], v[152:153], -v[198:199]
	v_add_f64 v[158:159], v[154:155], -v[206:207]
	v_add_f64 v[160:161], v[230:231], -v[210:211]
	v_add_f64 v[162:163], v[196:197], -v[222:223]
	v_fma_f64 v[168:169], v[200:201], 2.0, -v[172:173]
	v_fma_f64 v[152:153], v[152:153], 2.0, -v[156:157]
	;; [unrolled: 1-line block ×5, first 2 shown]
	v_add_f64 v[218:219], v[148:149], -v[228:229]
	v_add_f64 v[222:223], v[150:151], -v[234:235]
	v_add_f64 v[196:197], v[152:153], -v[198:199]
	v_add_f64 v[198:199], v[154:155], -v[200:201]
	v_add_f64 v[204:205], v[156:157], -v[162:163]
	v_add_f64 v[206:207], v[158:159], v[160:161]
	v_fma_f64 v[160:161], v[148:149], 2.0, -v[218:219]
	v_fma_f64 v[162:163], v[150:151], 2.0, -v[222:223]
	v_add_f64 v[148:149], v[220:221], -v[238:239]
	v_add_f64 v[150:151], v[232:233], -v[236:237]
	v_add_f64 v[174:175], v[224:225], v[202:203]
	v_fma_f64 v[200:201], v[152:153], 2.0, -v[196:197]
	v_fma_f64 v[202:203], v[154:155], 2.0, -v[198:199]
	;; [unrolled: 1-line block ×6, first 2 shown]
	v_add_f64 v[156:157], v[218:219], -v[150:151]
	v_add_f64 v[158:159], v[222:223], v[148:149]
	v_add_f64 v[152:153], v[160:161], -v[152:153]
	v_add_f64 v[154:155], v[162:163], -v[154:155]
	v_fma_f64 v[148:149], v[218:219], 2.0, -v[156:157]
	v_fma_f64 v[150:151], v[222:223], 2.0, -v[158:159]
	v_fma_f64 v[170:171], v[224:225], 2.0, -v[174:175]
	ds_write_b128 v212, v[176:179]
	ds_write_b128 v212, v[168:171] offset:2704
	ds_write_b128 v212, v[164:167] offset:5408
	;; [unrolled: 1-line block ×11, first 2 shown]
	s_and_saveexec_b64 s[0:1], vcc
	s_cbranch_execz .LBB0_5
; %bb.4:
	v_fma_f64 v[162:163], v[162:163], 2.0, -v[154:155]
	v_fma_f64 v[160:161], v[160:161], 2.0, -v[152:153]
	ds_write_b128 v212, v[160:163] offset:2496
	ds_write_b128 v212, v[148:151] offset:5200
	;; [unrolled: 1-line block ×4, first 2 shown]
.LBB0_5:
	s_or_b64 exec, exec, s[0:1]
	v_mov_b32_e32 v213, 0
	v_lshl_add_u64 v[164:165], s[8:9], 0, v[212:213]
	s_mov_b64 s[0:1], 0x2a40
	v_lshl_add_u64 v[174:175], v[164:165], 0, s[0:1]
	s_movk_i32 s0, 0x2000
	v_add_co_u32_e64 v166, s[0:1], s0, v164
	s_waitcnt lgkmcnt(0)
	s_nop 0
	v_addc_co_u32_e64 v167, s[0:1], 0, v165, s[0:1]
	; wave barrier
	global_load_dwordx4 v[166:169], v[166:167], off offset:2624
	ds_read_b128 v[160:163], v212
	s_movk_i32 s0, 0x3000
	s_mov_b32 s18, 0x4267c47c
	s_mov_b32 s20, 0xe00740e9
	;; [unrolled: 1-line block ×29, first 2 shown]
	s_waitcnt vmcnt(0) lgkmcnt(0)
	v_mul_f64 v[170:171], v[162:163], v[168:169]
	v_mul_f64 v[172:173], v[160:161], v[168:169]
	v_fma_f64 v[170:171], v[160:161], v[166:167], -v[170:171]
	v_fmac_f64_e32 v[172:173], v[162:163], v[166:167]
	global_load_dwordx4 v[166:169], v[174:175], off offset:832
	ds_read_b128 v[160:163], v212 offset:832
	ds_write_b128 v212, v[170:173]
	s_waitcnt vmcnt(0) lgkmcnt(1)
	v_mul_f64 v[170:171], v[162:163], v[168:169]
	v_mul_f64 v[172:173], v[160:161], v[168:169]
	v_fma_f64 v[170:171], v[160:161], v[166:167], -v[170:171]
	v_fmac_f64_e32 v[172:173], v[162:163], v[166:167]
	global_load_dwordx4 v[166:169], v[174:175], off offset:1664
	ds_read_b128 v[160:163], v212 offset:1664
	ds_write_b128 v212, v[170:173] offset:832
	s_waitcnt vmcnt(0) lgkmcnt(1)
	v_mul_f64 v[170:171], v[162:163], v[168:169]
	v_mul_f64 v[172:173], v[160:161], v[168:169]
	v_fma_f64 v[170:171], v[160:161], v[166:167], -v[170:171]
	v_fmac_f64_e32 v[172:173], v[162:163], v[166:167]
	global_load_dwordx4 v[166:169], v[174:175], off offset:2496
	ds_read_b128 v[160:163], v212 offset:2496
	ds_write_b128 v212, v[170:173] offset:1664
	s_waitcnt vmcnt(0) lgkmcnt(1)
	v_mul_f64 v[170:171], v[162:163], v[168:169]
	v_mul_f64 v[172:173], v[160:161], v[168:169]
	v_fma_f64 v[170:171], v[160:161], v[166:167], -v[170:171]
	v_fmac_f64_e32 v[172:173], v[162:163], v[166:167]
	global_load_dwordx4 v[166:169], v[174:175], off offset:3328
	ds_read_b128 v[160:163], v212 offset:3328
	v_add_co_u32_e64 v174, s[0:1], s0, v164
	ds_write_b128 v212, v[170:173] offset:2496
	s_nop 0
	v_addc_co_u32_e64 v175, s[0:1], 0, v165, s[0:1]
	s_movk_i32 s0, 0x4000
	s_waitcnt vmcnt(0) lgkmcnt(1)
	v_mul_f64 v[170:171], v[162:163], v[168:169]
	v_mul_f64 v[172:173], v[160:161], v[168:169]
	v_fma_f64 v[170:171], v[160:161], v[166:167], -v[170:171]
	v_fmac_f64_e32 v[172:173], v[162:163], v[166:167]
	global_load_dwordx4 v[166:169], v[174:175], off offset:2688
	ds_read_b128 v[160:163], v212 offset:4160
	ds_write_b128 v212, v[170:173] offset:3328
	s_waitcnt vmcnt(0) lgkmcnt(1)
	v_mul_f64 v[170:171], v[162:163], v[168:169]
	v_mul_f64 v[172:173], v[160:161], v[168:169]
	v_fma_f64 v[170:171], v[160:161], v[166:167], -v[170:171]
	v_fmac_f64_e32 v[172:173], v[162:163], v[166:167]
	global_load_dwordx4 v[166:169], v[174:175], off offset:3520
	ds_read_b128 v[160:163], v212 offset:4992
	v_add_co_u32_e64 v174, s[0:1], s0, v164
	ds_write_b128 v212, v[170:173] offset:4160
	s_nop 0
	v_addc_co_u32_e64 v175, s[0:1], 0, v165, s[0:1]
	s_movk_i32 s0, 0x5000
	s_nop 0
	v_add_co_u32_e64 v164, s[0:1], s0, v164
	s_waitcnt vmcnt(0) lgkmcnt(1)
	v_mul_f64 v[170:171], v[162:163], v[168:169]
	v_mul_f64 v[172:173], v[160:161], v[168:169]
	v_fma_f64 v[170:171], v[160:161], v[166:167], -v[170:171]
	v_fmac_f64_e32 v[172:173], v[162:163], v[166:167]
	global_load_dwordx4 v[166:169], v[174:175], off offset:256
	ds_read_b128 v[160:163], v212 offset:5824
	ds_write_b128 v212, v[170:173] offset:4992
	v_addc_co_u32_e64 v165, s[0:1], 0, v165, s[0:1]
	s_mov_b32 s0, 0x66966769
	s_mov_b32 s1, 0xbfefc445
	;; [unrolled: 1-line block ×3, first 2 shown]
	s_waitcnt vmcnt(0) lgkmcnt(1)
	v_mul_f64 v[170:171], v[162:163], v[168:169]
	v_mul_f64 v[172:173], v[160:161], v[168:169]
	v_fma_f64 v[170:171], v[160:161], v[166:167], -v[170:171]
	v_fmac_f64_e32 v[172:173], v[162:163], v[166:167]
	global_load_dwordx4 v[166:169], v[174:175], off offset:1088
	ds_read_b128 v[160:163], v212 offset:6656
	ds_write_b128 v212, v[170:173] offset:5824
	s_waitcnt vmcnt(0) lgkmcnt(1)
	v_mul_f64 v[170:171], v[162:163], v[168:169]
	v_mul_f64 v[172:173], v[160:161], v[168:169]
	v_fma_f64 v[170:171], v[160:161], v[166:167], -v[170:171]
	v_fmac_f64_e32 v[172:173], v[162:163], v[166:167]
	global_load_dwordx4 v[166:169], v[174:175], off offset:1920
	ds_read_b128 v[160:163], v212 offset:7488
	ds_write_b128 v212, v[170:173] offset:6656
	;; [unrolled: 8-line block ×5, first 2 shown]
	s_waitcnt vmcnt(0) lgkmcnt(1)
	v_mul_f64 v[168:169], v[162:163], v[166:167]
	v_mul_f64 v[170:171], v[160:161], v[166:167]
	v_fma_f64 v[168:169], v[160:161], v[164:165], -v[168:169]
	v_fmac_f64_e32 v[170:171], v[162:163], v[164:165]
	ds_write_b128 v212, v[168:171] offset:9984
	s_waitcnt lgkmcnt(0)
	; wave barrier
	s_waitcnt lgkmcnt(0)
	ds_read_b128 v[192:195], v212
	ds_read_b128 v[204:207], v212 offset:832
	ds_read_b128 v[196:199], v212 offset:1664
	;; [unrolled: 1-line block ×12, first 2 shown]
	s_waitcnt lgkmcnt(11)
	v_add_f64 v[160:161], v[192:193], v[204:205]
	v_add_f64 v[162:163], v[194:195], v[206:207]
	s_waitcnt lgkmcnt(10)
	v_add_f64 v[160:161], v[160:161], v[196:197]
	v_add_f64 v[162:163], v[162:163], v[198:199]
	;; [unrolled: 3-line block ×10, first 2 shown]
	s_waitcnt lgkmcnt(1)
	v_add_f64 v[160:161], v[160:161], v[208:209]
	s_waitcnt lgkmcnt(0)
	v_add_f64 v[224:225], v[206:207], v[220:221]
	v_add_f64 v[206:207], v[206:207], -v[220:221]
	v_add_f64 v[162:163], v[162:163], v[210:211]
	v_add_f64 v[160:161], v[160:161], v[218:219]
	;; [unrolled: 1-line block ×3, first 2 shown]
	v_add_f64 v[204:205], v[204:205], -v[218:219]
	v_mul_f64 v[218:219], v[206:207], s[18:19]
	v_mul_f64 v[226:227], v[224:225], s[20:21]
	;; [unrolled: 1-line block ×12, first 2 shown]
	v_add_f64 v[162:163], v[162:163], v[220:221]
	v_fma_f64 v[220:221], s[20:21], v[222:223], v[218:219]
	v_fma_f64 v[228:229], s[22:23], v[204:205], v[226:227]
	v_fma_f64 v[218:219], v[222:223], s[20:21], -v[218:219]
	v_fmac_f64_e32 v[226:227], s[18:19], v[204:205]
	v_fma_f64 v[232:233], s[14:15], v[222:223], v[230:231]
	v_fma_f64 v[236:237], s[16:17], v[204:205], v[234:235]
	v_fma_f64 v[230:231], v[222:223], s[14:15], -v[230:231]
	v_fmac_f64_e32 v[234:235], s[12:13], v[204:205]
	;; [unrolled: 4-line block ×6, first 2 shown]
	v_add_f64 v[204:205], v[198:199], v[210:211]
	v_add_f64 v[198:199], v[198:199], -v[210:211]
	v_add_f64 v[220:221], v[192:193], v[220:221]
	v_add_f64 v[228:229], v[194:195], v[228:229]
	;; [unrolled: 1-line block ×25, first 2 shown]
	v_mul_f64 v[206:207], v[198:199], s[12:13]
	v_add_f64 v[196:197], v[196:197], -v[208:209]
	v_fma_f64 v[208:209], s[14:15], v[194:195], v[206:207]
	v_fma_f64 v[206:207], v[194:195], s[14:15], -v[206:207]
	v_mul_f64 v[210:211], v[204:205], s[14:15]
	v_add_f64 v[206:207], v[206:207], v[218:219]
	v_mul_f64 v[218:219], v[198:199], s[24:25]
	v_add_f64 v[208:209], v[208:209], v[220:221]
	v_fma_f64 v[220:221], s[16:17], v[196:197], v[210:211]
	v_fmac_f64_e32 v[210:211], s[12:13], v[196:197]
	v_fma_f64 v[222:223], s[26:27], v[194:195], v[218:219]
	v_mul_f64 v[224:225], v[204:205], s[26:27]
	v_add_f64 v[220:221], v[220:221], v[228:229]
	v_add_f64 v[210:211], v[210:211], v[226:227]
	;; [unrolled: 1-line block ×3, first 2 shown]
	v_fma_f64 v[226:227], s[28:29], v[196:197], v[224:225]
	v_fma_f64 v[218:219], v[194:195], s[26:27], -v[218:219]
	v_fmac_f64_e32 v[224:225], s[24:25], v[196:197]
	v_mul_f64 v[228:229], v[198:199], s[38:39]
	v_mul_f64 v[232:233], v[204:205], s[40:41]
	v_add_f64 v[226:227], v[226:227], v[236:237]
	v_add_f64 v[218:219], v[218:219], v[230:231]
	;; [unrolled: 1-line block ×3, first 2 shown]
	v_fma_f64 v[230:231], s[40:41], v[194:195], v[228:229]
	v_fma_f64 v[234:235], s[42:43], v[196:197], v[232:233]
	v_fma_f64 v[228:229], v[194:195], s[40:41], -v[228:229]
	v_mul_f64 v[236:237], v[198:199], s[36:37]
	v_add_f64 v[234:235], v[234:235], v[244:245]
	v_add_f64 v[228:229], v[228:229], v[238:239]
	v_fma_f64 v[238:239], s[34:35], v[194:195], v[236:237]
	v_fma_f64 v[236:237], v[194:195], s[34:35], -v[236:237]
	v_mul_f64 v[244:245], v[198:199], s[10:11]
	v_add_f64 v[236:237], v[236:237], v[246:247]
	v_fma_f64 v[246:247], s[8:9], v[194:195], v[244:245]
	v_add_f64 v[0:1], v[246:247], v[0:1]
	v_mul_f64 v[246:247], v[204:205], s[8:9]
	v_add_f64 v[230:231], v[230:231], v[240:241]
	v_fmac_f64_e32 v[232:233], s[38:39], v[196:197]
	v_add_f64 v[238:239], v[238:239], v[248:249]
	v_mul_f64 v[240:241], v[204:205], s[34:35]
	v_fma_f64 v[248:249], s[0:1], v[196:197], v[246:247]
	v_fma_f64 v[244:245], v[194:195], s[8:9], -v[244:245]
	v_fmac_f64_e32 v[246:247], s[10:11], v[196:197]
	v_mul_f64 v[198:199], v[198:199], s[22:23]
	v_mul_f64 v[204:205], v[204:205], s[20:21]
	v_add_f64 v[232:233], v[232:233], v[242:243]
	v_fma_f64 v[242:243], s[30:31], v[196:197], v[240:241]
	v_fmac_f64_e32 v[240:241], s[36:37], v[196:197]
	v_add_f64 v[6:7], v[244:245], v[6:7]
	v_add_f64 v[2:3], v[246:247], v[2:3]
	v_fma_f64 v[244:245], s[20:21], v[194:195], v[198:199]
	v_fma_f64 v[246:247], s[18:19], v[196:197], v[204:205]
	v_fma_f64 v[194:195], v[194:195], s[20:21], -v[198:199]
	v_fmac_f64_e32 v[204:205], s[22:23], v[196:197]
	v_add_f64 v[196:197], v[190:191], v[202:203]
	v_add_f64 v[190:191], v[190:191], -v[202:203]
	v_add_f64 v[10:11], v[194:195], v[10:11]
	v_add_f64 v[194:195], v[188:189], v[200:201]
	v_mul_f64 v[198:199], v[190:191], s[0:1]
	v_add_f64 v[188:189], v[188:189], -v[200:201]
	v_fma_f64 v[200:201], s[8:9], v[194:195], v[198:199]
	v_fma_f64 v[198:199], v[194:195], s[8:9], -v[198:199]
	v_add_f64 v[198:199], v[198:199], v[206:207]
	v_mul_f64 v[206:207], v[190:191], s[38:39]
	v_add_f64 v[200:201], v[200:201], v[208:209]
	v_mul_f64 v[202:203], v[196:197], s[8:9]
	v_fma_f64 v[208:209], s[40:41], v[194:195], v[206:207]
	v_fma_f64 v[206:207], v[194:195], s[40:41], -v[206:207]
	v_add_f64 v[192:193], v[204:205], v[192:193]
	v_fma_f64 v[204:205], s[10:11], v[188:189], v[202:203]
	v_fmac_f64_e32 v[202:203], s[0:1], v[188:189]
	v_add_f64 v[206:207], v[206:207], v[218:219]
	v_mul_f64 v[218:219], v[190:191], s[28:29]
	v_add_f64 v[202:203], v[202:203], v[210:211]
	v_add_f64 v[208:209], v[208:209], v[222:223]
	v_mul_f64 v[210:211], v[196:197], s[40:41]
	v_fma_f64 v[222:223], s[26:27], v[194:195], v[218:219]
	v_fma_f64 v[218:219], v[194:195], s[26:27], -v[218:219]
	v_add_f64 v[204:205], v[204:205], v[220:221]
	v_fma_f64 v[220:221], s[42:43], v[188:189], v[210:211]
	v_fmac_f64_e32 v[210:211], s[38:39], v[188:189]
	v_add_f64 v[218:219], v[218:219], v[228:229]
	v_mul_f64 v[228:229], v[190:191], s[22:23]
	v_add_f64 v[210:211], v[210:211], v[224:225]
	;; [unrolled: 10-line block ×3, first 2 shown]
	v_add_f64 v[230:231], v[230:231], v[238:239]
	v_mul_f64 v[232:233], v[196:197], s[20:21]
	v_fma_f64 v[238:239], s[14:15], v[194:195], v[236:237]
	v_add_f64 v[240:241], v[240:241], v[250:251]
	v_add_f64 v[226:227], v[226:227], v[234:235]
	v_fma_f64 v[234:235], s[18:19], v[188:189], v[232:233]
	v_fmac_f64_e32 v[232:233], s[22:23], v[188:189]
	v_add_f64 v[0:1], v[238:239], v[0:1]
	v_mul_f64 v[238:239], v[196:197], s[14:15]
	v_add_f64 v[232:233], v[232:233], v[240:241]
	v_fma_f64 v[240:241], s[16:17], v[188:189], v[238:239]
	v_fmac_f64_e32 v[238:239], s[12:13], v[188:189]
	v_mul_f64 v[196:197], v[196:197], s[34:35]
	v_fma_f64 v[236:237], v[194:195], s[14:15], -v[236:237]
	v_add_f64 v[2:3], v[238:239], v[2:3]
	v_mul_f64 v[190:191], v[190:191], s[30:31]
	v_fma_f64 v[238:239], s[36:37], v[188:189], v[196:197]
	v_fmac_f64_e32 v[196:197], s[30:31], v[188:189]
	v_add_f64 v[6:7], v[236:237], v[6:7]
	v_fma_f64 v[236:237], s[34:35], v[194:195], v[190:191]
	v_fma_f64 v[190:191], v[194:195], s[34:35], -v[190:191]
	v_add_f64 v[188:189], v[196:197], v[192:193]
	v_add_f64 v[192:193], v[182:183], v[186:187]
	v_add_f64 v[182:183], v[182:183], -v[186:187]
	v_add_f64 v[10:11], v[190:191], v[10:11]
	v_add_f64 v[190:191], v[180:181], v[184:185]
	v_add_f64 v[180:181], v[180:181], -v[184:185]
	v_mul_f64 v[184:185], v[182:183], s[24:25]
	v_fma_f64 v[186:187], s[26:27], v[190:191], v[184:185]
	v_fma_f64 v[184:185], v[190:191], s[26:27], -v[184:185]
	v_add_f64 v[184:185], v[184:185], v[198:199]
	v_mul_f64 v[198:199], v[182:183], s[36:37]
	v_add_f64 v[186:187], v[186:187], v[200:201]
	v_mul_f64 v[194:195], v[192:193], s[26:27]
	v_fma_f64 v[200:201], s[34:35], v[190:191], v[198:199]
	v_fma_f64 v[198:199], v[190:191], s[34:35], -v[198:199]
	v_fma_f64 v[196:197], s[28:29], v[180:181], v[194:195]
	v_fmac_f64_e32 v[194:195], s[24:25], v[180:181]
	v_add_f64 v[198:199], v[198:199], v[206:207]
	v_mul_f64 v[206:207], v[182:183], s[22:23]
	v_add_f64 v[194:195], v[194:195], v[202:203]
	v_add_f64 v[200:201], v[200:201], v[208:209]
	v_mul_f64 v[202:203], v[192:193], s[34:35]
	v_fma_f64 v[208:209], s[20:21], v[190:191], v[206:207]
	v_fma_f64 v[206:207], v[190:191], s[20:21], -v[206:207]
	v_add_f64 v[196:197], v[196:197], v[204:205]
	v_fma_f64 v[204:205], s[30:31], v[180:181], v[202:203]
	v_fmac_f64_e32 v[202:203], s[36:37], v[180:181]
	v_add_f64 v[206:207], v[206:207], v[218:219]
	v_mul_f64 v[218:219], v[182:183], s[0:1]
	v_add_f64 v[202:203], v[202:203], v[210:211]
	v_add_f64 v[208:209], v[208:209], v[222:223]
	v_mul_f64 v[210:211], v[192:193], s[20:21]
	v_fma_f64 v[222:223], s[8:9], v[190:191], v[218:219]
	v_fma_f64 v[218:219], v[190:191], s[8:9], -v[218:219]
	v_add_f64 v[204:205], v[204:205], v[220:221]
	v_fma_f64 v[220:221], s[18:19], v[180:181], v[210:211]
	v_fmac_f64_e32 v[210:211], s[22:23], v[180:181]
	v_add_f64 v[218:219], v[218:219], v[228:229]
	v_mul_f64 v[228:229], v[182:183], s[42:43]
	v_add_f64 v[210:211], v[210:211], v[224:225]
	v_add_f64 v[222:223], v[222:223], v[230:231]
	v_mul_f64 v[224:225], v[192:193], s[8:9]
	v_fma_f64 v[230:231], s[40:41], v[190:191], v[228:229]
	v_add_f64 v[220:221], v[220:221], v[226:227]
	v_fma_f64 v[226:227], s[10:11], v[180:181], v[224:225]
	v_fmac_f64_e32 v[224:225], s[0:1], v[180:181]
	v_add_f64 v[0:1], v[230:231], v[0:1]
	v_mul_f64 v[230:231], v[192:193], s[40:41]
	v_add_f64 v[224:225], v[224:225], v[232:233]
	v_fma_f64 v[232:233], s[38:39], v[180:181], v[230:231]
	v_fmac_f64_e32 v[230:231], s[42:43], v[180:181]
	v_mul_f64 v[192:193], v[192:193], s[14:15]
	v_fma_f64 v[228:229], v[190:191], s[40:41], -v[228:229]
	v_add_f64 v[2:3], v[230:231], v[2:3]
	v_mul_f64 v[182:183], v[182:183], s[16:17]
	v_fma_f64 v[230:231], s[12:13], v[180:181], v[192:193]
	v_fmac_f64_e32 v[192:193], s[16:17], v[180:181]
	v_add_f64 v[6:7], v[228:229], v[6:7]
	v_fma_f64 v[228:229], s[14:15], v[190:191], v[182:183]
	v_fma_f64 v[182:183], v[190:191], s[14:15], -v[182:183]
	v_add_f64 v[180:181], v[192:193], v[188:189]
	v_add_f64 v[188:189], v[174:175], v[178:179]
	v_add_f64 v[174:175], v[174:175], -v[178:179]
	v_add_f64 v[10:11], v[182:183], v[10:11]
	v_add_f64 v[182:183], v[172:173], v[176:177]
	v_add_f64 v[172:173], v[172:173], -v[176:177]
	v_mul_f64 v[176:177], v[174:175], s[30:31]
	v_fma_f64 v[178:179], s[34:35], v[182:183], v[176:177]
	v_add_f64 v[178:179], v[178:179], v[186:187]
	v_mul_f64 v[186:187], v[188:189], s[34:35]
	v_fma_f64 v[190:191], s[36:37], v[172:173], v[186:187]
	v_fma_f64 v[176:177], v[182:183], s[34:35], -v[176:177]
	v_fmac_f64_e32 v[186:187], s[30:31], v[172:173]
	v_add_f64 v[176:177], v[176:177], v[184:185]
	v_add_f64 v[184:185], v[186:187], v[194:195]
	v_mul_f64 v[186:187], v[174:175], s[10:11]
	v_fma_f64 v[192:193], s[8:9], v[182:183], v[186:187]
	v_fma_f64 v[186:187], v[182:183], s[8:9], -v[186:187]
	v_mul_f64 v[194:195], v[188:189], s[8:9]
	v_add_f64 v[186:187], v[186:187], v[198:199]
	v_mul_f64 v[198:199], v[174:175], s[12:13]
	v_add_f64 v[190:191], v[190:191], v[196:197]
	v_add_f64 v[192:193], v[192:193], v[200:201]
	v_fma_f64 v[196:197], s[0:1], v[172:173], v[194:195]
	v_fmac_f64_e32 v[194:195], s[10:11], v[172:173]
	v_fma_f64 v[200:201], s[14:15], v[182:183], v[198:199]
	v_fma_f64 v[198:199], v[182:183], s[14:15], -v[198:199]
	v_add_f64 v[194:195], v[194:195], v[202:203]
	v_mul_f64 v[202:203], v[188:189], s[14:15]
	v_add_f64 v[198:199], v[198:199], v[206:207]
	v_mul_f64 v[206:207], v[174:175], s[42:43]
	v_add_f64 v[242:243], v[242:243], v[252:253]
	v_add_f64 v[196:197], v[196:197], v[204:205]
	;; [unrolled: 1-line block ×3, first 2 shown]
	v_fma_f64 v[204:205], s[16:17], v[172:173], v[202:203]
	v_fmac_f64_e32 v[202:203], s[12:13], v[172:173]
	v_fma_f64 v[208:209], s[40:41], v[182:183], v[206:207]
	v_fma_f64 v[206:207], v[182:183], s[40:41], -v[206:207]
	v_add_f64 v[244:245], v[244:245], v[254:255]
	v_add_f64 v[234:235], v[234:235], v[242:243]
	;; [unrolled: 1-line block ×3, first 2 shown]
	v_mul_f64 v[210:211], v[188:189], s[40:41]
	v_add_f64 v[206:207], v[206:207], v[218:219]
	v_mul_f64 v[218:219], v[174:175], s[22:23]
	v_add_f64 v[4:5], v[248:249], v[4:5]
	v_add_f64 v[8:9], v[246:247], v[8:9]
	;; [unrolled: 1-line block ×6, first 2 shown]
	v_fma_f64 v[220:221], s[38:39], v[172:173], v[210:211]
	v_fma_f64 v[222:223], s[20:21], v[182:183], v[218:219]
	v_fma_f64 v[218:219], v[182:183], s[20:21], -v[218:219]
	v_mul_f64 v[174:175], v[174:175], s[24:25]
	v_add_f64 v[4:5], v[240:241], v[4:5]
	v_add_f64 v[8:9], v[238:239], v[8:9]
	;; [unrolled: 1-line block ×4, first 2 shown]
	v_fmac_f64_e32 v[210:211], s[42:43], v[172:173]
	v_add_f64 v[0:1], v[222:223], v[0:1]
	v_mul_f64 v[222:223], v[188:189], s[20:21]
	v_add_f64 v[6:7], v[218:219], v[6:7]
	v_fma_f64 v[218:219], s[26:27], v[182:183], v[174:175]
	v_add_f64 v[226:227], v[166:167], v[170:171]
	v_add_f64 v[4:5], v[232:233], v[4:5]
	;; [unrolled: 1-line block ×4, first 2 shown]
	v_fma_f64 v[224:225], s[18:19], v[172:173], v[222:223]
	v_add_f64 v[218:219], v[218:219], v[228:229]
	v_add_f64 v[228:229], v[164:165], -v[168:169]
	v_add_f64 v[230:231], v[166:167], -v[170:171]
	v_mul_f64 v[170:171], v[226:227], s[40:41]
	v_add_f64 v[4:5], v[224:225], v[4:5]
	v_fmac_f64_e32 v[222:223], s[22:23], v[172:173]
	v_mul_f64 v[188:189], v[188:189], s[26:27]
	v_add_f64 v[224:225], v[164:165], v[168:169]
	v_mul_f64 v[168:169], v[230:231], s[38:39]
	v_fma_f64 v[166:167], s[42:43], v[228:229], v[170:171]
	v_fmac_f64_e32 v[170:171], s[38:39], v[228:229]
	v_add_f64 v[2:3], v[222:223], v[2:3]
	v_fma_f64 v[222:223], s[28:29], v[172:173], v[188:189]
	v_fmac_f64_e32 v[188:189], s[24:25], v[172:173]
	v_fma_f64 v[164:165], s[40:41], v[224:225], v[168:169]
	v_add_f64 v[170:171], v[170:171], v[184:185]
	v_mul_f64 v[184:185], v[230:231], s[30:31]
	v_add_f64 v[8:9], v[222:223], v[8:9]
	v_fma_f64 v[174:175], v[182:183], s[26:27], -v[174:175]
	v_add_f64 v[222:223], v[188:189], v[180:181]
	v_add_f64 v[164:165], v[164:165], v[178:179]
	v_fma_f64 v[168:169], v[224:225], s[40:41], -v[168:169]
	v_mul_f64 v[178:179], v[226:227], s[20:21]
	v_fma_f64 v[180:181], s[34:35], v[224:225], v[184:185]
	v_add_f64 v[10:11], v[174:175], v[10:11]
	v_add_f64 v[168:169], v[168:169], v[176:177]
	v_mul_f64 v[176:177], v[230:231], s[22:23]
	v_fma_f64 v[174:175], s[18:19], v[228:229], v[178:179]
	v_add_f64 v[180:181], v[180:181], v[200:201]
	v_mul_f64 v[200:201], v[230:231], s[24:25]
	v_fma_f64 v[172:173], s[20:21], v[224:225], v[176:177]
	v_add_f64 v[174:175], v[174:175], v[196:197]
	v_fma_f64 v[176:177], v[224:225], s[20:21], -v[176:177]
	v_fma_f64 v[196:197], s[26:27], v[224:225], v[200:201]
	v_add_f64 v[176:177], v[176:177], v[186:187]
	v_mul_f64 v[186:187], v[226:227], s[34:35]
	v_fma_f64 v[184:185], v[224:225], s[34:35], -v[184:185]
	v_add_f64 v[196:197], v[196:197], v[0:1]
	v_mul_f64 v[0:1], v[226:227], s[26:27]
	v_fma_f64 v[182:183], s[36:37], v[228:229], v[186:187]
	v_add_f64 v[184:185], v[184:185], v[198:199]
	v_fmac_f64_e32 v[186:187], s[30:31], v[228:229]
	v_fma_f64 v[198:199], s[28:29], v[228:229], v[0:1]
	v_fmac_f64_e32 v[0:1], s[24:25], v[228:229]
	v_add_f64 v[186:187], v[186:187], v[202:203]
	v_add_f64 v[202:203], v[0:1], v[2:3]
	v_mul_f64 v[0:1], v[230:231], s[10:11]
	v_fmac_f64_e32 v[178:179], s[22:23], v[228:229]
	v_fma_f64 v[2:3], s[8:9], v[224:225], v[0:1]
	v_add_f64 v[172:173], v[172:173], v[192:193]
	v_add_f64 v[178:179], v[178:179], v[194:195]
	;; [unrolled: 1-line block ×3, first 2 shown]
	v_mul_f64 v[192:193], v[230:231], s[16:17]
	v_mul_f64 v[194:195], v[226:227], s[14:15]
	v_add_f64 v[198:199], v[198:199], v[4:5]
	v_fma_f64 v[4:5], v[224:225], s[26:27], -v[200:201]
	v_add_f64 v[204:205], v[2:3], v[218:219]
	v_mul_f64 v[2:3], v[226:227], s[8:9]
	v_add_f64 v[166:167], v[166:167], v[190:191]
	v_fma_f64 v[188:189], s[14:15], v[224:225], v[192:193]
	v_fma_f64 v[190:191], s[12:13], v[228:229], v[194:195]
	v_fma_f64 v[192:193], v[224:225], s[14:15], -v[192:193]
	v_fmac_f64_e32 v[194:195], s[16:17], v[228:229]
	v_add_f64 v[200:201], v[4:5], v[6:7]
	v_fma_f64 v[4:5], s[0:1], v[228:229], v[2:3]
	v_fma_f64 v[0:1], v[224:225], s[8:9], -v[0:1]
	v_fmac_f64_e32 v[2:3], s[10:11], v[228:229]
	v_add_f64 v[188:189], v[188:189], v[208:209]
	v_add_f64 v[190:191], v[190:191], v[220:221]
	;; [unrolled: 1-line block ×7, first 2 shown]
	s_waitcnt lgkmcnt(0)
	; wave barrier
	ds_write_b128 v215, v[160:163]
	ds_write_b128 v215, v[164:167] offset:16
	ds_write_b128 v215, v[172:175] offset:32
	ds_write_b128 v215, v[180:183] offset:48
	ds_write_b128 v215, v[188:191] offset:64
	ds_write_b128 v215, v[196:199] offset:80
	ds_write_b128 v215, v[204:207] offset:96
	ds_write_b128 v215, v[208:211] offset:112
	ds_write_b128 v215, v[200:203] offset:128
	ds_write_b128 v215, v[192:195] offset:144
	ds_write_b128 v215, v[184:187] offset:160
	ds_write_b128 v215, v[176:179] offset:176
	ds_write_b128 v215, v[168:171] offset:192
	s_waitcnt lgkmcnt(0)
	; wave barrier
	s_waitcnt lgkmcnt(0)
	ds_read_b128 v[160:163], v212
	ds_read_b128 v[164:167], v212 offset:832
	ds_read_b128 v[168:171], v212 offset:1664
	;; [unrolled: 1-line block ×12, first 2 shown]
	s_waitcnt lgkmcnt(9)
	v_mul_f64 v[8:9], v[58:59], v[174:175]
	v_mul_f64 v[10:11], v[58:59], v[172:173]
	;; [unrolled: 1-line block ×3, first 2 shown]
	v_fmac_f64_e32 v[8:9], v[56:57], v[172:173]
	v_fma_f64 v[10:11], v[56:57], v[174:175], -v[10:11]
	s_waitcnt lgkmcnt(5)
	v_mul_f64 v[56:57], v[70:71], v[188:189]
	v_fmac_f64_e32 v[0:1], v[64:65], v[164:165]
	v_mul_f64 v[2:3], v[66:67], v[164:165]
	v_mul_f64 v[4:5], v[62:63], v[170:171]
	;; [unrolled: 1-line block ×5, first 2 shown]
	v_fma_f64 v[62:63], v[68:69], v[190:191], -v[56:57]
	s_waitcnt lgkmcnt(4)
	v_mul_f64 v[56:57], v[82:83], v[192:193]
	v_fma_f64 v[2:3], v[64:65], v[166:167], -v[2:3]
	v_fmac_f64_e32 v[4:5], v[60:61], v[168:169]
	v_fma_f64 v[6:7], v[60:61], v[170:171], -v[6:7]
	v_fmac_f64_e32 v[164:165], v[52:53], v[176:177]
	v_fma_f64 v[166:167], v[52:53], v[178:179], -v[54:55]
	v_mul_f64 v[52:53], v[78:79], v[180:181]
	v_mul_f64 v[60:61], v[70:71], v[190:191]
	v_fma_f64 v[70:71], v[80:81], v[194:195], -v[56:57]
	s_waitcnt lgkmcnt(3)
	v_mul_f64 v[56:57], v[86:87], v[196:197]
	v_fma_f64 v[66:67], v[76:77], v[182:183], -v[52:53]
	v_mul_f64 v[52:53], v[74:75], v[186:187]
	v_mul_f64 v[54:55], v[74:75], v[184:185]
	v_fma_f64 v[74:75], v[84:85], v[198:199], -v[56:57]
	s_waitcnt lgkmcnt(2)
	v_mul_f64 v[56:57], v[90:91], v[200:201]
	v_mul_f64 v[64:65], v[78:79], v[182:183]
	v_fma_f64 v[78:79], v[88:89], v[202:203], -v[56:57]
	s_waitcnt lgkmcnt(1)
	v_mul_f64 v[56:57], v[94:95], v[204:205]
	v_fmac_f64_e32 v[60:61], v[68:69], v[188:189]
	v_mul_f64 v[68:69], v[82:83], v[194:195]
	v_fma_f64 v[82:83], v[92:93], v[206:207], -v[56:57]
	s_waitcnt lgkmcnt(0)
	v_mul_f64 v[56:57], v[98:99], v[208:209]
	v_fmac_f64_e32 v[52:53], v[72:73], v[184:185]
	v_fma_f64 v[54:55], v[72:73], v[186:187], -v[54:55]
	v_mul_f64 v[72:73], v[86:87], v[198:199]
	v_fma_f64 v[86:87], v[96:97], v[210:211], -v[56:57]
	v_add_f64 v[56:57], v[160:161], v[0:1]
	v_add_f64 v[58:59], v[162:163], v[2:3]
	v_add_f64 v[56:57], v[56:57], v[4:5]
	v_add_f64 v[58:59], v[58:59], v[6:7]
	v_add_f64 v[56:57], v[56:57], v[8:9]
	v_fmac_f64_e32 v[64:65], v[76:77], v[180:181]
	v_add_f64 v[58:59], v[58:59], v[10:11]
	v_add_f64 v[56:57], v[56:57], v[164:165]
	;; [unrolled: 1-line block ×6, first 2 shown]
	v_fmac_f64_e32 v[68:69], v[80:81], v[192:193]
	v_add_f64 v[58:59], v[58:59], v[54:55]
	v_add_f64 v[56:57], v[56:57], v[60:61]
	v_fmac_f64_e32 v[72:73], v[84:85], v[196:197]
	v_mul_f64 v[76:77], v[90:91], v[202:203]
	v_mul_f64 v[84:85], v[98:99], v[210:211]
	v_add_f64 v[58:59], v[58:59], v[62:63]
	v_add_f64 v[56:57], v[56:57], v[68:69]
	v_fmac_f64_e32 v[76:77], v[88:89], v[200:201]
	v_mul_f64 v[80:81], v[94:95], v[206:207]
	v_fmac_f64_e32 v[84:85], v[96:97], v[208:209]
	v_add_f64 v[58:59], v[58:59], v[70:71]
	v_add_f64 v[56:57], v[56:57], v[72:73]
	;; [unrolled: 1-line block ×3, first 2 shown]
	v_fmac_f64_e32 v[80:81], v[92:93], v[204:205]
	v_add_f64 v[58:59], v[58:59], v[74:75]
	v_add_f64 v[56:57], v[56:57], v[76:77]
	;; [unrolled: 1-line block ×3, first 2 shown]
	v_add_f64 v[0:1], v[0:1], -v[84:85]
	v_mul_f64 v[92:93], v[90:91], s[20:21]
	v_mul_f64 v[168:169], v[90:91], s[14:15]
	;; [unrolled: 1-line block ×6, first 2 shown]
	v_add_f64 v[58:59], v[58:59], v[78:79]
	v_add_f64 v[56:57], v[56:57], v[80:81]
	v_add_f64 v[2:3], v[2:3], -v[86:87]
	v_fma_f64 v[198:199], s[42:43], v[0:1], v[90:91]
	v_fmac_f64_e32 v[90:91], s[38:39], v[0:1]
	v_add_f64 v[58:59], v[58:59], v[82:83]
	v_add_f64 v[56:57], v[56:57], v[84:85]
	v_mul_f64 v[84:85], v[2:3], s[18:19]
	v_fma_f64 v[94:95], s[22:23], v[0:1], v[92:93]
	v_fmac_f64_e32 v[92:93], s[18:19], v[0:1]
	v_mul_f64 v[96:97], v[2:3], s[12:13]
	v_fma_f64 v[170:171], s[16:17], v[0:1], v[168:169]
	v_fmac_f64_e32 v[168:169], s[12:13], v[0:1]
	;; [unrolled: 3-line block ×5, first 2 shown]
	v_mul_f64 v[2:3], v[2:3], s[38:39]
	v_add_f64 v[0:1], v[162:163], v[90:91]
	v_add_f64 v[90:91], v[6:7], v[82:83]
	v_add_f64 v[6:7], v[6:7], -v[82:83]
	v_add_f64 v[58:59], v[58:59], v[86:87]
	v_fma_f64 v[86:87], s[20:21], v[88:89], v[84:85]
	v_fma_f64 v[84:85], v[88:89], s[20:21], -v[84:85]
	v_fma_f64 v[98:99], s[14:15], v[88:89], v[96:97]
	v_fma_f64 v[96:97], v[88:89], s[14:15], -v[96:97]
	;; [unrolled: 2-line block ×6, first 2 shown]
	v_add_f64 v[88:89], v[4:5], v[80:81]
	v_add_f64 v[4:5], v[4:5], -v[80:81]
	v_mul_f64 v[80:81], v[6:7], s[12:13]
	v_add_f64 v[86:87], v[160:161], v[86:87]
	v_fma_f64 v[82:83], s[14:15], v[88:89], v[80:81]
	v_add_f64 v[82:83], v[82:83], v[86:87]
	v_mul_f64 v[86:87], v[90:91], s[14:15]
	v_add_f64 v[84:85], v[160:161], v[84:85]
	v_add_f64 v[92:93], v[162:163], v[92:93]
	;; [unrolled: 1-line block ×12, first 2 shown]
	v_fma_f64 v[160:161], s[16:17], v[4:5], v[86:87]
	v_fma_f64 v[80:81], v[88:89], s[14:15], -v[80:81]
	v_fmac_f64_e32 v[86:87], s[12:13], v[4:5]
	v_add_f64 v[80:81], v[80:81], v[84:85]
	v_add_f64 v[84:85], v[86:87], v[92:93]
	v_mul_f64 v[86:87], v[6:7], s[24:25]
	v_fma_f64 v[92:93], s[26:27], v[88:89], v[86:87]
	v_add_f64 v[94:95], v[162:163], v[94:95]
	v_add_f64 v[92:93], v[92:93], v[98:99]
	v_mul_f64 v[98:99], v[90:91], s[26:27]
	v_add_f64 v[168:169], v[162:163], v[168:169]
	v_add_f64 v[94:95], v[160:161], v[94:95]
	v_fma_f64 v[160:161], s[28:29], v[4:5], v[98:99]
	v_fma_f64 v[86:87], v[88:89], s[26:27], -v[86:87]
	v_fmac_f64_e32 v[98:99], s[24:25], v[4:5]
	v_add_f64 v[86:87], v[86:87], v[96:97]
	v_add_f64 v[96:97], v[98:99], v[168:169]
	v_mul_f64 v[98:99], v[6:7], s[38:39]
	v_add_f64 v[170:171], v[162:163], v[170:171]
	v_add_f64 v[178:179], v[162:163], v[178:179]
	;; [unrolled: 1-line block ×8, first 2 shown]
	v_fma_f64 v[162:163], s[40:41], v[88:89], v[98:99]
	v_fma_f64 v[98:99], v[88:89], s[40:41], -v[98:99]
	v_add_f64 v[98:99], v[98:99], v[172:173]
	v_mul_f64 v[172:173], v[6:7], s[36:37]
	v_add_f64 v[162:163], v[162:163], v[174:175]
	v_mul_f64 v[168:169], v[90:91], s[40:41]
	v_fma_f64 v[174:175], s[34:35], v[88:89], v[172:173]
	v_fma_f64 v[172:173], v[88:89], s[34:35], -v[172:173]
	v_add_f64 v[160:161], v[160:161], v[170:171]
	v_fma_f64 v[170:171], s[42:43], v[4:5], v[168:169]
	v_fmac_f64_e32 v[168:169], s[38:39], v[4:5]
	v_add_f64 v[172:173], v[172:173], v[180:181]
	v_mul_f64 v[180:181], v[6:7], s[10:11]
	v_add_f64 v[168:169], v[168:169], v[176:177]
	v_add_f64 v[174:175], v[174:175], v[182:183]
	v_mul_f64 v[176:177], v[90:91], s[34:35]
	v_fma_f64 v[182:183], s[8:9], v[88:89], v[180:181]
	v_fma_f64 v[180:181], v[88:89], s[8:9], -v[180:181]
	v_mul_f64 v[6:7], v[6:7], s[22:23]
	v_add_f64 v[170:171], v[170:171], v[178:179]
	v_fma_f64 v[178:179], s[30:31], v[4:5], v[176:177]
	v_fmac_f64_e32 v[176:177], s[36:37], v[4:5]
	v_add_f64 v[180:181], v[180:181], v[188:189]
	v_fma_f64 v[188:189], s[20:21], v[88:89], v[6:7]
	v_fma_f64 v[6:7], v[88:89], s[20:21], -v[6:7]
	v_add_f64 v[176:177], v[176:177], v[184:185]
	v_mul_f64 v[184:185], v[90:91], s[8:9]
	v_mul_f64 v[90:91], v[90:91], s[20:21]
	v_add_f64 v[2:3], v[6:7], v[2:3]
	v_add_f64 v[6:7], v[10:11], v[78:79]
	v_add_f64 v[10:11], v[10:11], -v[78:79]
	v_add_f64 v[178:179], v[178:179], v[186:187]
	v_add_f64 v[182:183], v[182:183], v[190:191]
	v_fma_f64 v[186:187], s[0:1], v[4:5], v[184:185]
	v_fmac_f64_e32 v[184:185], s[10:11], v[4:5]
	v_fma_f64 v[190:191], s[18:19], v[4:5], v[90:91]
	v_fmac_f64_e32 v[90:91], s[22:23], v[4:5]
	v_add_f64 v[4:5], v[8:9], v[76:77]
	v_add_f64 v[8:9], v[8:9], -v[76:77]
	v_mul_f64 v[76:77], v[10:11], s[0:1]
	v_fma_f64 v[78:79], s[8:9], v[4:5], v[76:77]
	v_add_f64 v[78:79], v[78:79], v[82:83]
	v_mul_f64 v[82:83], v[6:7], s[8:9]
	v_fma_f64 v[88:89], s[10:11], v[8:9], v[82:83]
	v_fma_f64 v[76:77], v[4:5], s[8:9], -v[76:77]
	v_fmac_f64_e32 v[82:83], s[0:1], v[8:9]
	v_add_f64 v[76:77], v[76:77], v[80:81]
	v_add_f64 v[80:81], v[82:83], v[84:85]
	v_mul_f64 v[82:83], v[10:11], s[38:39]
	v_add_f64 v[0:1], v[90:91], v[0:1]
	v_fma_f64 v[84:85], s[40:41], v[4:5], v[82:83]
	v_mul_f64 v[90:91], v[6:7], s[40:41]
	v_add_f64 v[84:85], v[84:85], v[92:93]
	v_fma_f64 v[92:93], s[42:43], v[8:9], v[90:91]
	v_fma_f64 v[82:83], v[4:5], s[40:41], -v[82:83]
	v_fmac_f64_e32 v[90:91], s[38:39], v[8:9]
	v_add_f64 v[82:83], v[82:83], v[86:87]
	v_add_f64 v[86:87], v[90:91], v[96:97]
	v_mul_f64 v[90:91], v[10:11], s[28:29]
	v_add_f64 v[88:89], v[88:89], v[94:95]
	v_fma_f64 v[94:95], s[26:27], v[4:5], v[90:91]
	v_fma_f64 v[90:91], v[4:5], s[26:27], -v[90:91]
	v_mul_f64 v[96:97], v[6:7], s[26:27]
	v_add_f64 v[90:91], v[90:91], v[98:99]
	v_mul_f64 v[98:99], v[10:11], s[22:23]
	v_add_f64 v[92:93], v[92:93], v[160:161]
	v_add_f64 v[94:95], v[94:95], v[162:163]
	v_fma_f64 v[160:161], s[24:25], v[8:9], v[96:97]
	v_fmac_f64_e32 v[96:97], s[28:29], v[8:9]
	v_fma_f64 v[162:163], s[20:21], v[4:5], v[98:99]
	v_fma_f64 v[98:99], v[4:5], s[20:21], -v[98:99]
	v_add_f64 v[96:97], v[96:97], v[168:169]
	v_mul_f64 v[168:169], v[6:7], s[20:21]
	v_add_f64 v[98:99], v[98:99], v[172:173]
	v_mul_f64 v[172:173], v[10:11], s[12:13]
	v_add_f64 v[160:161], v[160:161], v[170:171]
	v_add_f64 v[162:163], v[162:163], v[174:175]
	v_fma_f64 v[170:171], s[18:19], v[8:9], v[168:169]
	v_fmac_f64_e32 v[168:169], s[22:23], v[8:9]
	v_fma_f64 v[174:175], s[14:15], v[4:5], v[172:173]
	v_fma_f64 v[172:173], v[4:5], s[14:15], -v[172:173]
	v_mul_f64 v[10:11], v[10:11], s[30:31]
	v_add_f64 v[168:169], v[168:169], v[176:177]
	v_mul_f64 v[176:177], v[6:7], s[14:15]
	v_add_f64 v[172:173], v[172:173], v[180:181]
	v_fma_f64 v[180:181], s[34:35], v[4:5], v[10:11]
	v_mul_f64 v[6:7], v[6:7], s[34:35]
	v_fma_f64 v[4:5], v[4:5], s[34:35], -v[10:11]
	v_add_f64 v[10:11], v[166:167], -v[74:75]
	v_add_f64 v[170:171], v[170:171], v[178:179]
	v_add_f64 v[174:175], v[174:175], v[182:183]
	v_fma_f64 v[178:179], s[16:17], v[8:9], v[176:177]
	v_fmac_f64_e32 v[176:177], s[12:13], v[8:9]
	v_fma_f64 v[182:183], s[36:37], v[8:9], v[6:7]
	v_add_f64 v[2:3], v[4:5], v[2:3]
	v_fmac_f64_e32 v[6:7], s[30:31], v[8:9]
	v_add_f64 v[4:5], v[164:165], v[72:73]
	v_add_f64 v[8:9], v[164:165], -v[72:73]
	v_mul_f64 v[72:73], v[10:11], s[24:25]
	v_add_f64 v[0:1], v[6:7], v[0:1]
	v_add_f64 v[6:7], v[166:167], v[74:75]
	v_fma_f64 v[74:75], s[26:27], v[4:5], v[72:73]
	v_add_f64 v[74:75], v[74:75], v[78:79]
	v_mul_f64 v[78:79], v[6:7], s[26:27]
	v_fma_f64 v[164:165], s[28:29], v[8:9], v[78:79]
	v_fma_f64 v[72:73], v[4:5], s[26:27], -v[72:73]
	v_fmac_f64_e32 v[78:79], s[24:25], v[8:9]
	v_add_f64 v[72:73], v[72:73], v[76:77]
	v_add_f64 v[76:77], v[78:79], v[80:81]
	v_mul_f64 v[78:79], v[10:11], s[36:37]
	v_fma_f64 v[80:81], s[34:35], v[4:5], v[78:79]
	v_add_f64 v[80:81], v[80:81], v[84:85]
	v_mul_f64 v[84:85], v[6:7], s[34:35]
	v_add_f64 v[88:89], v[164:165], v[88:89]
	v_fma_f64 v[164:165], s[30:31], v[8:9], v[84:85]
	v_fma_f64 v[78:79], v[4:5], s[34:35], -v[78:79]
	v_fmac_f64_e32 v[84:85], s[36:37], v[8:9]
	v_add_f64 v[78:79], v[78:79], v[82:83]
	v_add_f64 v[82:83], v[84:85], v[86:87]
	v_mul_f64 v[84:85], v[10:11], s[22:23]
	v_fma_f64 v[86:87], s[20:21], v[4:5], v[84:85]
	v_add_f64 v[86:87], v[86:87], v[94:95]
	v_mul_f64 v[94:95], v[6:7], s[20:21]
	v_add_f64 v[92:93], v[164:165], v[92:93]
	;; [unrolled: 10-line block ×3, first 2 shown]
	v_fma_f64 v[164:165], s[10:11], v[8:9], v[162:163]
	v_fma_f64 v[94:95], v[4:5], s[8:9], -v[94:95]
	v_fmac_f64_e32 v[162:163], s[0:1], v[8:9]
	v_add_f64 v[94:95], v[94:95], v[98:99]
	v_add_f64 v[98:99], v[162:163], v[168:169]
	v_mul_f64 v[162:163], v[10:11], s[42:43]
	v_fma_f64 v[166:167], s[40:41], v[4:5], v[162:163]
	v_mul_f64 v[168:169], v[6:7], s[40:41]
	v_fma_f64 v[162:163], v[4:5], s[40:41], -v[162:163]
	v_mul_f64 v[10:11], v[10:11], s[16:17]
	v_mul_f64 v[6:7], v[6:7], s[14:15]
	v_add_f64 v[166:167], v[166:167], v[174:175]
	v_add_f64 v[162:163], v[162:163], v[172:173]
	v_fma_f64 v[172:173], s[14:15], v[4:5], v[10:11]
	v_fma_f64 v[174:175], s[12:13], v[8:9], v[6:7]
	v_fma_f64 v[4:5], v[4:5], s[14:15], -v[10:11]
	v_fmac_f64_e32 v[6:7], s[16:17], v[8:9]
	v_add_f64 v[10:11], v[66:67], -v[70:71]
	v_add_f64 v[164:165], v[164:165], v[170:171]
	v_fma_f64 v[170:171], s[38:39], v[8:9], v[168:169]
	v_fmac_f64_e32 v[168:169], s[42:43], v[8:9]
	v_add_f64 v[2:3], v[4:5], v[2:3]
	v_add_f64 v[0:1], v[6:7], v[0:1]
	;; [unrolled: 1-line block ×4, first 2 shown]
	v_add_f64 v[8:9], v[64:65], -v[68:69]
	v_mul_f64 v[64:65], v[10:11], s[30:31]
	v_fma_f64 v[66:67], s[34:35], v[4:5], v[64:65]
	v_mul_f64 v[68:69], v[6:7], s[34:35]
	v_fma_f64 v[64:65], v[4:5], s[34:35], -v[64:65]
	v_fma_f64 v[70:71], s[36:37], v[8:9], v[68:69]
	v_add_f64 v[64:65], v[64:65], v[72:73]
	v_fmac_f64_e32 v[68:69], s[30:31], v[8:9]
	v_mul_f64 v[72:73], v[10:11], s[10:11]
	v_add_f64 v[66:67], v[66:67], v[74:75]
	v_add_f64 v[68:69], v[68:69], v[76:77]
	v_fma_f64 v[74:75], s[8:9], v[4:5], v[72:73]
	v_mul_f64 v[76:77], v[6:7], s[8:9]
	v_fma_f64 v[72:73], v[4:5], s[8:9], -v[72:73]
	v_add_f64 v[74:75], v[74:75], v[80:81]
	v_fma_f64 v[80:81], s[0:1], v[8:9], v[76:77]
	v_add_f64 v[72:73], v[72:73], v[78:79]
	v_fmac_f64_e32 v[76:77], s[10:11], v[8:9]
	v_mul_f64 v[78:79], v[10:11], s[12:13]
	v_add_f64 v[76:77], v[76:77], v[82:83]
	v_fma_f64 v[82:83], s[14:15], v[4:5], v[78:79]
	v_add_f64 v[82:83], v[82:83], v[86:87]
	v_mul_f64 v[86:87], v[6:7], s[14:15]
	v_add_f64 v[70:71], v[70:71], v[88:89]
	v_fma_f64 v[88:89], s[16:17], v[8:9], v[86:87]
	v_fma_f64 v[78:79], v[4:5], s[14:15], -v[78:79]
	v_fmac_f64_e32 v[86:87], s[12:13], v[8:9]
	v_add_f64 v[78:79], v[78:79], v[84:85]
	v_add_f64 v[84:85], v[86:87], v[90:91]
	v_mul_f64 v[86:87], v[10:11], s[42:43]
	v_add_f64 v[80:81], v[80:81], v[92:93]
	v_fma_f64 v[90:91], s[40:41], v[4:5], v[86:87]
	v_mul_f64 v[92:93], v[6:7], s[40:41]
	v_fma_f64 v[86:87], v[4:5], s[40:41], -v[86:87]
	v_add_f64 v[90:91], v[90:91], v[96:97]
	v_fma_f64 v[96:97], s[38:39], v[8:9], v[92:93]
	v_add_f64 v[86:87], v[86:87], v[94:95]
	v_fmac_f64_e32 v[92:93], s[42:43], v[8:9]
	v_mul_f64 v[94:95], v[10:11], s[22:23]
	v_add_f64 v[92:93], v[92:93], v[98:99]
	v_fma_f64 v[98:99], s[20:21], v[4:5], v[94:95]
	v_fma_f64 v[94:95], v[4:5], s[20:21], -v[94:95]
	v_mul_f64 v[10:11], v[10:11], s[24:25]
	v_add_f64 v[88:89], v[88:89], v[160:161]
	v_mul_f64 v[160:161], v[6:7], s[20:21]
	v_add_f64 v[94:95], v[94:95], v[162:163]
	v_fma_f64 v[162:163], s[26:27], v[4:5], v[10:11]
	v_mul_f64 v[6:7], v[6:7], s[26:27]
	v_fma_f64 v[4:5], v[4:5], s[26:27], -v[10:11]
	v_add_f64 v[10:11], v[54:55], -v[62:63]
	v_add_f64 v[96:97], v[96:97], v[164:165]
	v_add_f64 v[98:99], v[98:99], v[166:167]
	v_fma_f64 v[164:165], s[18:19], v[8:9], v[160:161]
	v_fmac_f64_e32 v[160:161], s[22:23], v[8:9]
	v_fma_f64 v[166:167], s[28:29], v[8:9], v[6:7]
	v_add_f64 v[2:3], v[4:5], v[2:3]
	v_fmac_f64_e32 v[6:7], s[24:25], v[8:9]
	v_add_f64 v[4:5], v[52:53], v[60:61]
	v_add_f64 v[8:9], v[52:53], -v[60:61]
	v_mul_f64 v[52:53], v[10:11], s[38:39]
	v_add_f64 v[0:1], v[6:7], v[0:1]
	v_add_f64 v[6:7], v[54:55], v[62:63]
	v_fma_f64 v[54:55], s[40:41], v[4:5], v[52:53]
	v_add_f64 v[60:61], v[54:55], v[66:67]
	v_mul_f64 v[54:55], v[6:7], s[40:41]
	v_fma_f64 v[62:63], s[42:43], v[8:9], v[54:55]
	v_add_f64 v[62:63], v[62:63], v[70:71]
	v_fmac_f64_e32 v[54:55], s[38:39], v[8:9]
	v_mul_f64 v[70:71], v[6:7], s[20:21]
	v_fma_f64 v[52:53], v[4:5], s[40:41], -v[52:53]
	v_add_f64 v[54:55], v[54:55], v[68:69]
	v_mul_f64 v[68:69], v[10:11], s[22:23]
	v_fma_f64 v[66:67], s[18:19], v[8:9], v[70:71]
	v_fmac_f64_e32 v[70:71], s[22:23], v[8:9]
	v_add_f64 v[52:53], v[52:53], v[64:65]
	v_fma_f64 v[64:65], s[20:21], v[4:5], v[68:69]
	v_add_f64 v[66:67], v[66:67], v[80:81]
	v_fma_f64 v[68:69], v[4:5], s[20:21], -v[68:69]
	v_add_f64 v[70:71], v[70:71], v[76:77]
	v_mul_f64 v[76:77], v[10:11], s[30:31]
	v_mul_f64 v[80:81], v[6:7], s[34:35]
	v_add_f64 v[64:65], v[64:65], v[74:75]
	v_add_f64 v[68:69], v[68:69], v[72:73]
	v_fma_f64 v[72:73], s[34:35], v[4:5], v[76:77]
	v_fma_f64 v[74:75], s[36:37], v[8:9], v[80:81]
	v_fma_f64 v[76:77], v[4:5], s[34:35], -v[76:77]
	v_fmac_f64_e32 v[80:81], s[30:31], v[8:9]
	v_add_f64 v[184:185], v[184:185], v[192:193]
	v_add_f64 v[74:75], v[74:75], v[88:89]
	;; [unrolled: 1-line block ×4, first 2 shown]
	v_mul_f64 v[84:85], v[10:11], s[16:17]
	v_mul_f64 v[88:89], v[6:7], s[14:15]
	v_add_f64 v[186:187], v[186:187], v[194:195]
	v_add_f64 v[188:189], v[188:189], v[196:197]
	;; [unrolled: 1-line block ×5, first 2 shown]
	v_fma_f64 v[80:81], s[14:15], v[4:5], v[84:85]
	v_fma_f64 v[82:83], s[12:13], v[8:9], v[88:89]
	v_fma_f64 v[84:85], v[4:5], s[14:15], -v[84:85]
	v_fmac_f64_e32 v[88:89], s[16:17], v[8:9]
	v_add_f64 v[178:179], v[178:179], v[186:187]
	v_add_f64 v[180:181], v[180:181], v[188:189]
	;; [unrolled: 1-line block ×7, first 2 shown]
	v_mul_f64 v[92:93], v[10:11], s[24:25]
	v_mul_f64 v[96:97], v[6:7], s[26:27]
	v_add_f64 v[170:171], v[170:171], v[178:179]
	v_add_f64 v[172:173], v[172:173], v[180:181]
	;; [unrolled: 1-line block ×5, first 2 shown]
	v_fma_f64 v[88:89], s[26:27], v[4:5], v[92:93]
	v_fma_f64 v[90:91], s[28:29], v[8:9], v[96:97]
	v_fma_f64 v[92:93], v[4:5], s[26:27], -v[92:93]
	v_fmac_f64_e32 v[96:97], s[24:25], v[8:9]
	v_mul_f64 v[10:11], v[10:11], s[10:11]
	v_mul_f64 v[6:7], v[6:7], s[8:9]
	v_add_f64 v[164:165], v[164:165], v[170:171]
	v_add_f64 v[162:163], v[162:163], v[172:173]
	;; [unrolled: 1-line block ×6, first 2 shown]
	v_fma_f64 v[96:97], s[8:9], v[4:5], v[10:11]
	v_fma_f64 v[98:99], s[0:1], v[8:9], v[6:7]
	v_fma_f64 v[4:5], v[4:5], s[8:9], -v[10:11]
	v_fmac_f64_e32 v[6:7], s[10:11], v[8:9]
	v_add_f64 v[90:91], v[90:91], v[164:165]
	v_add_f64 v[96:97], v[96:97], v[162:163]
	;; [unrolled: 1-line block ×5, first 2 shown]
	s_waitcnt lgkmcnt(0)
	; wave barrier
	ds_write_b128 v217, v[56:59]
	ds_write_b128 v217, v[60:63] offset:208
	ds_write_b128 v217, v[64:67] offset:416
	;; [unrolled: 1-line block ×12, first 2 shown]
	s_waitcnt lgkmcnt(0)
	; wave barrier
	s_waitcnt lgkmcnt(0)
	ds_read_b128 v[64:67], v212
	ds_read_b128 v[160:163], v212 offset:2704
	ds_read_b128 v[96:99], v212 offset:5408
	;; [unrolled: 1-line block ×11, first 2 shown]
	s_and_saveexec_b64 s[0:1], vcc
	s_cbranch_execz .LBB0_7
; %bb.6:
	ds_read_b128 v[52:55], v212 offset:2496
	ds_read_b128 v[148:151], v212 offset:5200
	;; [unrolled: 1-line block ×4, first 2 shown]
.LBB0_7:
	s_or_b64 exec, exec, s[0:1]
	s_waitcnt lgkmcnt(9)
	v_mul_f64 v[4:5], v[118:119], v[98:99]
	s_waitcnt lgkmcnt(8)
	v_mul_f64 v[8:9], v[114:115], v[78:79]
	v_fmac_f64_e32 v[4:5], v[116:117], v[96:97]
	v_mul_f64 v[6:7], v[118:119], v[96:97]
	v_fmac_f64_e32 v[8:9], v[112:113], v[76:77]
	v_mul_f64 v[10:11], v[114:115], v[76:77]
	s_waitcnt lgkmcnt(6)
	v_mul_f64 v[96:97], v[134:135], v[90:91]
	v_mul_f64 v[76:77], v[134:135], v[88:89]
	v_fmac_f64_e32 v[96:97], v[132:133], v[88:89]
	v_fma_f64 v[88:89], v[132:133], v[90:91], -v[76:77]
	s_waitcnt lgkmcnt(5)
	v_mul_f64 v[90:91], v[130:131], v[94:95]
	v_mul_f64 v[76:77], v[130:131], v[92:93]
	;; [unrolled: 1-line block ×4, first 2 shown]
	v_fmac_f64_e32 v[90:91], v[128:129], v[92:93]
	v_fma_f64 v[92:93], v[128:129], v[94:95], -v[76:77]
	s_waitcnt lgkmcnt(4)
	v_mul_f64 v[94:95], v[126:127], v[74:75]
	v_fmac_f64_e32 v[0:1], v[120:121], v[160:161]
	v_fma_f64 v[2:3], v[120:121], v[162:163], -v[2:3]
	v_fma_f64 v[6:7], v[116:117], v[98:99], -v[6:7]
	;; [unrolled: 1-line block ×3, first 2 shown]
	v_fmac_f64_e32 v[94:95], v[124:125], v[72:73]
	v_mul_f64 v[72:73], v[126:127], v[72:73]
	s_waitcnt lgkmcnt(0)
	v_mul_f64 v[120:121], v[138:139], v[70:71]
	v_fma_f64 v[98:99], v[124:125], v[74:75], -v[72:73]
	v_mul_f64 v[72:73], v[146:147], v[84:85]
	v_fmac_f64_e32 v[120:121], v[136:137], v[68:69]
	v_mul_f64 v[68:69], v[138:139], v[68:69]
	v_add_f64 v[4:5], v[64:65], -v[4:5]
	v_add_f64 v[6:7], v[66:67], -v[6:7]
	;; [unrolled: 1-line block ×4, first 2 shown]
	v_fma_f64 v[114:115], v[144:145], v[86:87], -v[72:73]
	v_mul_f64 v[72:73], v[142:143], v[80:81]
	v_fma_f64 v[122:123], v[136:137], v[70:71], -v[68:69]
	v_fma_f64 v[68:69], v[64:65], 2.0, -v[4:5]
	v_fma_f64 v[70:71], v[66:67], 2.0, -v[6:7]
	;; [unrolled: 1-line block ×4, first 2 shown]
	v_mul_f64 v[112:113], v[146:147], v[86:87]
	v_mul_f64 v[116:117], v[142:143], v[82:83]
	v_fma_f64 v[118:119], v[140:141], v[82:83], -v[72:73]
	v_add_f64 v[64:65], v[68:69], -v[0:1]
	v_add_f64 v[66:67], v[70:71], -v[2:3]
	v_add_f64 v[72:73], v[4:5], v[10:11]
	v_add_f64 v[74:75], v[6:7], -v[8:9]
	v_add_f64 v[0:1], v[60:61], -v[90:91]
	;; [unrolled: 1-line block ×5, first 2 shown]
	v_fmac_f64_e32 v[112:113], v[144:145], v[84:85]
	v_fmac_f64_e32 v[116:117], v[140:141], v[80:81]
	v_fma_f64 v[76:77], v[4:5], 2.0, -v[72:73]
	v_fma_f64 v[78:79], v[6:7], 2.0, -v[74:75]
	;; [unrolled: 1-line block ×6, first 2 shown]
	v_add_f64 v[84:85], v[0:1], v[10:11]
	v_add_f64 v[86:87], v[2:3], -v[8:9]
	v_add_f64 v[60:61], v[4:5], -v[60:61]
	;; [unrolled: 1-line block ×3, first 2 shown]
	v_fma_f64 v[88:89], v[0:1], 2.0, -v[84:85]
	v_fma_f64 v[90:91], v[2:3], 2.0, -v[86:87]
	v_add_f64 v[0:1], v[56:57], -v[116:117]
	v_add_f64 v[2:3], v[58:59], -v[118:119]
	;; [unrolled: 1-line block ×4, first 2 shown]
	v_fma_f64 v[80:81], v[4:5], 2.0, -v[60:61]
	v_fma_f64 v[82:83], v[6:7], 2.0, -v[62:63]
	;; [unrolled: 1-line block ×8, first 2 shown]
	v_add_f64 v[56:57], v[4:5], -v[56:57]
	v_add_f64 v[58:59], v[6:7], -v[58:59]
	v_add_f64 v[96:97], v[0:1], v[10:11]
	v_add_f64 v[98:99], v[2:3], -v[8:9]
	v_fma_f64 v[92:93], v[4:5], 2.0, -v[56:57]
	v_fma_f64 v[94:95], v[6:7], 2.0, -v[58:59]
	;; [unrolled: 1-line block ×4, first 2 shown]
	ds_write_b128 v212, v[68:71]
	ds_write_b128 v212, v[76:79] offset:2704
	ds_write_b128 v212, v[64:67] offset:5408
	;; [unrolled: 1-line block ×11, first 2 shown]
	s_and_saveexec_b64 s[0:1], vcc
	s_cbranch_execz .LBB0_9
; %bb.8:
	v_mul_f64 v[0:1], v[110:111], v[152:153]
	v_mul_f64 v[2:3], v[106:107], v[150:151]
	;; [unrolled: 1-line block ×3, first 2 shown]
	v_fma_f64 v[0:1], v[108:109], v[154:155], -v[0:1]
	v_fmac_f64_e32 v[2:3], v[104:105], v[148:149]
	v_fmac_f64_e32 v[4:5], v[100:101], v[156:157]
	v_mul_f64 v[8:9], v[106:107], v[148:149]
	v_mul_f64 v[10:11], v[102:103], v[156:157]
	v_add_f64 v[0:1], v[54:55], -v[0:1]
	v_add_f64 v[4:5], v[2:3], -v[4:5]
	v_fma_f64 v[8:9], v[104:105], v[150:151], -v[8:9]
	v_fma_f64 v[10:11], v[100:101], v[158:159], -v[10:11]
	v_add_f64 v[58:59], v[0:1], -v[4:5]
	v_mul_f64 v[6:7], v[110:111], v[154:155]
	v_add_f64 v[10:11], v[8:9], -v[10:11]
	v_fma_f64 v[62:63], v[0:1], 2.0, -v[58:59]
	v_fmac_f64_e32 v[6:7], v[108:109], v[152:153]
	v_fma_f64 v[0:1], v[54:55], 2.0, -v[0:1]
	v_fma_f64 v[8:9], v[8:9], 2.0, -v[10:11]
	v_add_f64 v[6:7], v[52:53], -v[6:7]
	v_add_f64 v[54:55], v[0:1], -v[8:9]
	v_fma_f64 v[66:67], v[0:1], 2.0, -v[54:55]
	v_fma_f64 v[0:1], v[52:53], 2.0, -v[6:7]
	;; [unrolled: 1-line block ×3, first 2 shown]
	v_add_f64 v[52:53], v[0:1], -v[2:3]
	v_add_f64 v[56:57], v[6:7], v[10:11]
	v_fma_f64 v[64:65], v[0:1], 2.0, -v[52:53]
	v_fma_f64 v[60:61], v[6:7], 2.0, -v[56:57]
	ds_write_b128 v212, v[64:67] offset:2496
	ds_write_b128 v212, v[60:63] offset:5200
	;; [unrolled: 1-line block ×4, first 2 shown]
.LBB0_9:
	s_or_b64 exec, exec, s[0:1]
	s_waitcnt lgkmcnt(0)
	; wave barrier
	s_waitcnt lgkmcnt(0)
	ds_read_b128 v[52:55], v212
	ds_read_b128 v[56:59], v212 offset:832
	v_mad_u64_u32 v[2:3], s[0:1], s6, v214, 0
	v_mov_b32_e32 v4, v3
	v_mad_u64_u32 v[4:5], s[0:1], s7, v214, v[4:5]
	v_mov_b32_e32 v3, v4
	s_waitcnt lgkmcnt(1)
	v_mul_f64 v[4:5], v[42:43], v[54:55]
	s_mov_b32 s0, 0x7ab2bedd
	v_fmac_f64_e32 v[4:5], v[40:41], v[52:53]
	s_mov_b32 s1, 0x3f583c97
	v_mul_f64 v[60:61], v[4:5], s[0:1]
	v_mul_f64 v[4:5], v[42:43], v[52:53]
	v_fma_f64 v[4:5], v[40:41], v[54:55], -v[4:5]
	v_mov_b32_e32 v0, s2
	v_mov_b32_e32 v1, s3
	v_mul_f64 v[62:63], v[4:5], s[0:1]
	v_mad_u64_u32 v[4:5], s[2:3], s4, v216, 0
	v_mov_b32_e32 v6, v5
	v_lshl_add_u64 v[0:1], v[2:3], 4, v[0:1]
	s_waitcnt lgkmcnt(0)
	v_mul_f64 v[2:3], v[18:19], v[58:59]
	v_mad_u64_u32 v[6:7], s[2:3], s5, v216, v[6:7]
	v_fmac_f64_e32 v[2:3], v[16:17], v[56:57]
	v_mov_b32_e32 v5, v6
	v_mul_f64 v[40:41], v[2:3], s[0:1]
	v_mul_f64 v[2:3], v[18:19], v[56:57]
	v_lshl_add_u64 v[0:1], v[4:5], 4, v[0:1]
	v_fma_f64 v[2:3], v[16:17], v[58:59], -v[2:3]
	v_mov_b32_e32 v56, 0x340
	ds_read_b128 v[16:19], v212 offset:1664
	global_store_dwordx4 v[0:1], v[60:63], off
	v_mad_u64_u32 v[0:1], s[2:3], s4, v56, v[0:1]
	s_mul_i32 s2, s5, 0x340
	v_mul_f64 v[42:43], v[2:3], s[0:1]
	v_add_u32_e32 v1, s2, v1
	global_store_dwordx4 v[0:1], v[40:43], off
	ds_read_b128 v[40:43], v212 offset:2496
	s_waitcnt lgkmcnt(1)
	v_mul_f64 v[2:3], v[38:39], v[18:19]
	v_fmac_f64_e32 v[2:3], v[36:37], v[16:17]
	v_mul_f64 v[52:53], v[2:3], s[0:1]
	v_mul_f64 v[2:3], v[38:39], v[16:17]
	v_fma_f64 v[2:3], v[36:37], v[18:19], -v[2:3]
	v_mul_f64 v[54:55], v[2:3], s[0:1]
	s_waitcnt lgkmcnt(0)
	v_mul_f64 v[2:3], v[26:27], v[42:43]
	v_fmac_f64_e32 v[2:3], v[24:25], v[40:41]
	v_mul_f64 v[16:17], v[2:3], s[0:1]
	v_mul_f64 v[2:3], v[26:27], v[40:41]
	v_mad_u64_u32 v[0:1], s[6:7], s4, v56, v[0:1]
	v_fma_f64 v[2:3], v[24:25], v[42:43], -v[2:3]
	ds_read_b128 v[24:27], v212 offset:3328
	v_add_u32_e32 v1, s2, v1
	global_store_dwordx4 v[0:1], v[52:55], off
	v_mad_u64_u32 v[0:1], s[6:7], s4, v56, v[0:1]
	v_mul_f64 v[18:19], v[2:3], s[0:1]
	v_add_u32_e32 v1, s2, v1
	v_accvgpr_read_b32 v7, a3
	global_store_dwordx4 v[0:1], v[16:19], off
	ds_read_b128 v[16:19], v212 offset:4160
	v_accvgpr_read_b32 v6, a2
	v_accvgpr_read_b32 v5, a1
	;; [unrolled: 1-line block ×3, first 2 shown]
	s_waitcnt lgkmcnt(1)
	v_mul_f64 v[2:3], v[6:7], v[26:27]
	v_fmac_f64_e32 v[2:3], v[4:5], v[24:25]
	v_mul_f64 v[36:37], v[2:3], s[0:1]
	v_mul_f64 v[2:3], v[6:7], v[24:25]
	v_fma_f64 v[2:3], v[4:5], v[26:27], -v[2:3]
	v_mul_f64 v[38:39], v[2:3], s[0:1]
	v_mad_u64_u32 v[4:5], s[6:7], s4, v56, v[0:1]
	s_waitcnt lgkmcnt(0)
	v_mul_f64 v[0:1], v[50:51], v[18:19]
	v_mul_f64 v[2:3], v[50:51], v[16:17]
	v_fmac_f64_e32 v[0:1], v[48:49], v[16:17]
	v_fma_f64 v[2:3], v[48:49], v[18:19], -v[2:3]
	ds_read_b128 v[16:19], v212 offset:4992
	v_add_u32_e32 v5, s2, v5
	global_store_dwordx4 v[4:5], v[36:39], off
	v_mad_u64_u32 v[4:5], s[6:7], s4, v56, v[4:5]
	v_mul_f64 v[0:1], v[0:1], s[0:1]
	v_mul_f64 v[2:3], v[2:3], s[0:1]
	v_add_u32_e32 v5, s2, v5
	v_accvgpr_read_b32 v8, a8
	global_store_dwordx4 v[4:5], v[0:3], off
	ds_read_b128 v[0:3], v212 offset:5824
	v_accvgpr_read_b32 v10, a10
	v_accvgpr_read_b32 v11, a11
	;; [unrolled: 1-line block ×3, first 2 shown]
	s_waitcnt lgkmcnt(1)
	v_mul_f64 v[6:7], v[10:11], v[18:19]
	v_fmac_f64_e32 v[6:7], v[8:9], v[16:17]
	v_mul_f64 v[24:25], v[6:7], s[0:1]
	v_mul_f64 v[6:7], v[10:11], v[16:17]
	v_fma_f64 v[6:7], v[8:9], v[18:19], -v[6:7]
	v_mul_f64 v[26:27], v[6:7], s[0:1]
	s_waitcnt lgkmcnt(0)
	v_mul_f64 v[6:7], v[46:47], v[2:3]
	v_fmac_f64_e32 v[6:7], v[44:45], v[0:1]
	v_mul_f64 v[0:1], v[46:47], v[0:1]
	v_mad_u64_u32 v[4:5], s[6:7], s4, v56, v[4:5]
	v_fma_f64 v[0:1], v[44:45], v[2:3], -v[0:1]
	v_add_u32_e32 v5, s2, v5
	v_mul_f64 v[10:11], v[0:1], s[0:1]
	ds_read_b128 v[0:3], v212 offset:6656
	global_store_dwordx4 v[4:5], v[24:27], off
	v_mad_u64_u32 v[4:5], s[6:7], s4, v56, v[4:5]
	v_mul_f64 v[8:9], v[6:7], s[0:1]
	v_add_u32_e32 v5, s2, v5
	global_store_dwordx4 v[4:5], v[8:11], off
	ds_read_b128 v[8:11], v212 offset:7488
	v_accvgpr_read_b32 v27, a7
	v_accvgpr_read_b32 v26, a6
	v_accvgpr_read_b32 v25, a5
	v_accvgpr_read_b32 v24, a4
	s_waitcnt lgkmcnt(1)
	v_mul_f64 v[6:7], v[26:27], v[2:3]
	v_fmac_f64_e32 v[6:7], v[24:25], v[0:1]
	v_mul_f64 v[0:1], v[26:27], v[0:1]
	v_fma_f64 v[0:1], v[24:25], v[2:3], -v[0:1]
	v_mad_u64_u32 v[24:25], s[6:7], s4, v56, v[4:5]
	v_mul_f64 v[16:17], v[6:7], s[0:1]
	v_mul_f64 v[18:19], v[0:1], s[0:1]
	v_add_u32_e32 v25, s2, v25
	s_waitcnt lgkmcnt(0)
	v_mul_f64 v[0:1], v[22:23], v[10:11]
	v_mul_f64 v[2:3], v[22:23], v[8:9]
	ds_read_b128 v[4:7], v212 offset:8320
	global_store_dwordx4 v[24:25], v[16:19], off
	v_fmac_f64_e32 v[0:1], v[20:21], v[8:9]
	v_fma_f64 v[2:3], v[20:21], v[10:11], -v[2:3]
	v_mad_u64_u32 v[16:17], s[6:7], s4, v56, v[24:25]
	v_mul_f64 v[0:1], v[0:1], s[0:1]
	v_mul_f64 v[2:3], v[2:3], s[0:1]
	v_add_u32_e32 v17, s2, v17
	global_store_dwordx4 v[16:17], v[0:3], off
	ds_read_b128 v[0:3], v212 offset:9152
	s_waitcnt lgkmcnt(1)
	v_mul_f64 v[8:9], v[14:15], v[6:7]
	v_fmac_f64_e32 v[8:9], v[12:13], v[4:5]
	v_mul_f64 v[4:5], v[14:15], v[4:5]
	v_fma_f64 v[4:5], v[12:13], v[6:7], -v[4:5]
	v_mul_f64 v[10:11], v[4:5], s[0:1]
	s_waitcnt lgkmcnt(0)
	v_mul_f64 v[4:5], v[30:31], v[2:3]
	v_fmac_f64_e32 v[4:5], v[28:29], v[0:1]
	v_mul_f64 v[0:1], v[30:31], v[0:1]
	v_fma_f64 v[0:1], v[28:29], v[2:3], -v[0:1]
	v_mul_f64 v[6:7], v[0:1], s[0:1]
	ds_read_b128 v[0:3], v212 offset:9984
	v_mad_u64_u32 v[12:13], s[6:7], s4, v56, v[16:17]
	v_mul_f64 v[8:9], v[8:9], s[0:1]
	v_add_u32_e32 v13, s2, v13
	global_store_dwordx4 v[12:13], v[8:11], off
	v_mul_f64 v[4:5], v[4:5], s[0:1]
	s_nop 0
	v_mad_u64_u32 v[8:9], s[6:7], s4, v56, v[12:13]
	v_add_u32_e32 v9, s2, v9
	global_store_dwordx4 v[8:9], v[4:7], off
	s_waitcnt lgkmcnt(0)
	s_nop 0
	v_mul_f64 v[4:5], v[34:35], v[2:3]
	v_fmac_f64_e32 v[4:5], v[32:33], v[0:1]
	v_mul_f64 v[0:1], v[34:35], v[0:1]
	v_fma_f64 v[0:1], v[32:33], v[2:3], -v[0:1]
	v_mul_f64 v[4:5], v[4:5], s[0:1]
	v_mul_f64 v[6:7], v[0:1], s[0:1]
	v_mad_u64_u32 v[0:1], s[0:1], s4, v56, v[8:9]
	v_add_u32_e32 v1, s2, v1
	global_store_dwordx4 v[0:1], v[4:7], off
.LBB0_10:
	s_endpgm
	.section	.rodata,"a",@progbits
	.p2align	6, 0x0
	.amdhsa_kernel bluestein_single_fwd_len676_dim1_dp_op_CI_CI
		.amdhsa_group_segment_fixed_size 10816
		.amdhsa_private_segment_fixed_size 0
		.amdhsa_kernarg_size 104
		.amdhsa_user_sgpr_count 2
		.amdhsa_user_sgpr_dispatch_ptr 0
		.amdhsa_user_sgpr_queue_ptr 0
		.amdhsa_user_sgpr_kernarg_segment_ptr 1
		.amdhsa_user_sgpr_dispatch_id 0
		.amdhsa_user_sgpr_kernarg_preload_length 0
		.amdhsa_user_sgpr_kernarg_preload_offset 0
		.amdhsa_user_sgpr_private_segment_size 0
		.amdhsa_uses_dynamic_stack 0
		.amdhsa_enable_private_segment 0
		.amdhsa_system_sgpr_workgroup_id_x 1
		.amdhsa_system_sgpr_workgroup_id_y 0
		.amdhsa_system_sgpr_workgroup_id_z 0
		.amdhsa_system_sgpr_workgroup_info 0
		.amdhsa_system_vgpr_workitem_id 0
		.amdhsa_next_free_vgpr 268
		.amdhsa_next_free_sgpr 48
		.amdhsa_accum_offset 256
		.amdhsa_reserve_vcc 1
		.amdhsa_float_round_mode_32 0
		.amdhsa_float_round_mode_16_64 0
		.amdhsa_float_denorm_mode_32 3
		.amdhsa_float_denorm_mode_16_64 3
		.amdhsa_dx10_clamp 1
		.amdhsa_ieee_mode 1
		.amdhsa_fp16_overflow 0
		.amdhsa_tg_split 0
		.amdhsa_exception_fp_ieee_invalid_op 0
		.amdhsa_exception_fp_denorm_src 0
		.amdhsa_exception_fp_ieee_div_zero 0
		.amdhsa_exception_fp_ieee_overflow 0
		.amdhsa_exception_fp_ieee_underflow 0
		.amdhsa_exception_fp_ieee_inexact 0
		.amdhsa_exception_int_div_zero 0
	.end_amdhsa_kernel
	.text
.Lfunc_end0:
	.size	bluestein_single_fwd_len676_dim1_dp_op_CI_CI, .Lfunc_end0-bluestein_single_fwd_len676_dim1_dp_op_CI_CI
                                        ; -- End function
	.section	.AMDGPU.csdata,"",@progbits
; Kernel info:
; codeLenInByte = 20636
; NumSgprs: 54
; NumVgprs: 256
; NumAgprs: 12
; TotalNumVgprs: 268
; ScratchSize: 0
; MemoryBound: 0
; FloatMode: 240
; IeeeMode: 1
; LDSByteSize: 10816 bytes/workgroup (compile time only)
; SGPRBlocks: 6
; VGPRBlocks: 33
; NumSGPRsForWavesPerEU: 54
; NumVGPRsForWavesPerEU: 268
; AccumOffset: 256
; Occupancy: 1
; WaveLimiterHint : 1
; COMPUTE_PGM_RSRC2:SCRATCH_EN: 0
; COMPUTE_PGM_RSRC2:USER_SGPR: 2
; COMPUTE_PGM_RSRC2:TRAP_HANDLER: 0
; COMPUTE_PGM_RSRC2:TGID_X_EN: 1
; COMPUTE_PGM_RSRC2:TGID_Y_EN: 0
; COMPUTE_PGM_RSRC2:TGID_Z_EN: 0
; COMPUTE_PGM_RSRC2:TIDIG_COMP_CNT: 0
; COMPUTE_PGM_RSRC3_GFX90A:ACCUM_OFFSET: 63
; COMPUTE_PGM_RSRC3_GFX90A:TG_SPLIT: 0
	.text
	.p2alignl 6, 3212836864
	.fill 256, 4, 3212836864
	.type	__hip_cuid_b0567f60d43d8792,@object ; @__hip_cuid_b0567f60d43d8792
	.section	.bss,"aw",@nobits
	.globl	__hip_cuid_b0567f60d43d8792
__hip_cuid_b0567f60d43d8792:
	.byte	0                               ; 0x0
	.size	__hip_cuid_b0567f60d43d8792, 1

	.ident	"AMD clang version 19.0.0git (https://github.com/RadeonOpenCompute/llvm-project roc-6.4.0 25133 c7fe45cf4b819c5991fe208aaa96edf142730f1d)"
	.section	".note.GNU-stack","",@progbits
	.addrsig
	.addrsig_sym __hip_cuid_b0567f60d43d8792
	.amdgpu_metadata
---
amdhsa.kernels:
  - .agpr_count:     12
    .args:
      - .actual_access:  read_only
        .address_space:  global
        .offset:         0
        .size:           8
        .value_kind:     global_buffer
      - .actual_access:  read_only
        .address_space:  global
        .offset:         8
        .size:           8
        .value_kind:     global_buffer
      - .actual_access:  read_only
        .address_space:  global
        .offset:         16
        .size:           8
        .value_kind:     global_buffer
      - .actual_access:  read_only
        .address_space:  global
        .offset:         24
        .size:           8
        .value_kind:     global_buffer
      - .actual_access:  read_only
        .address_space:  global
        .offset:         32
        .size:           8
        .value_kind:     global_buffer
      - .offset:         40
        .size:           8
        .value_kind:     by_value
      - .address_space:  global
        .offset:         48
        .size:           8
        .value_kind:     global_buffer
      - .address_space:  global
        .offset:         56
        .size:           8
        .value_kind:     global_buffer
      - .address_space:  global
        .offset:         64
        .size:           8
        .value_kind:     global_buffer
      - .address_space:  global
        .offset:         72
        .size:           8
        .value_kind:     global_buffer
      - .offset:         80
        .size:           4
        .value_kind:     by_value
      - .address_space:  global
        .offset:         88
        .size:           8
        .value_kind:     global_buffer
      - .address_space:  global
        .offset:         96
        .size:           8
        .value_kind:     global_buffer
    .group_segment_fixed_size: 10816
    .kernarg_segment_align: 8
    .kernarg_segment_size: 104
    .language:       OpenCL C
    .language_version:
      - 2
      - 0
    .max_flat_workgroup_size: 52
    .name:           bluestein_single_fwd_len676_dim1_dp_op_CI_CI
    .private_segment_fixed_size: 0
    .sgpr_count:     54
    .sgpr_spill_count: 0
    .symbol:         bluestein_single_fwd_len676_dim1_dp_op_CI_CI.kd
    .uniform_work_group_size: 1
    .uses_dynamic_stack: false
    .vgpr_count:     268
    .vgpr_spill_count: 0
    .wavefront_size: 64
amdhsa.target:   amdgcn-amd-amdhsa--gfx950
amdhsa.version:
  - 1
  - 2
...

	.end_amdgpu_metadata
